;; amdgpu-corpus repo=pytorch/pytorch kind=compiled arch=gfx942 opt=O3
	.text
	.amdgcn_target "amdgcn-amd-amdhsa--gfx942"
	.amdhsa_code_object_version 6
	.section	.text._ZN7rocprim17ROCPRIM_304000_NS6detail28radix_sort_block_sort_kernelINS1_36wrapped_radix_sort_block_sort_configINS0_13kernel_configILj256ELj4ELj4294967295EEElN2at4cuda3cub6detail10OpaqueTypeILi1EEEEELb1EPKlPlPKSB_PSB_NS0_19identity_decomposerEEEvT1_T2_T3_T4_jT5_jj,"axG",@progbits,_ZN7rocprim17ROCPRIM_304000_NS6detail28radix_sort_block_sort_kernelINS1_36wrapped_radix_sort_block_sort_configINS0_13kernel_configILj256ELj4ELj4294967295EEElN2at4cuda3cub6detail10OpaqueTypeILi1EEEEELb1EPKlPlPKSB_PSB_NS0_19identity_decomposerEEEvT1_T2_T3_T4_jT5_jj,comdat
	.protected	_ZN7rocprim17ROCPRIM_304000_NS6detail28radix_sort_block_sort_kernelINS1_36wrapped_radix_sort_block_sort_configINS0_13kernel_configILj256ELj4ELj4294967295EEElN2at4cuda3cub6detail10OpaqueTypeILi1EEEEELb1EPKlPlPKSB_PSB_NS0_19identity_decomposerEEEvT1_T2_T3_T4_jT5_jj ; -- Begin function _ZN7rocprim17ROCPRIM_304000_NS6detail28radix_sort_block_sort_kernelINS1_36wrapped_radix_sort_block_sort_configINS0_13kernel_configILj256ELj4ELj4294967295EEElN2at4cuda3cub6detail10OpaqueTypeILi1EEEEELb1EPKlPlPKSB_PSB_NS0_19identity_decomposerEEEvT1_T2_T3_T4_jT5_jj
	.globl	_ZN7rocprim17ROCPRIM_304000_NS6detail28radix_sort_block_sort_kernelINS1_36wrapped_radix_sort_block_sort_configINS0_13kernel_configILj256ELj4ELj4294967295EEElN2at4cuda3cub6detail10OpaqueTypeILi1EEEEELb1EPKlPlPKSB_PSB_NS0_19identity_decomposerEEEvT1_T2_T3_T4_jT5_jj
	.p2align	8
	.type	_ZN7rocprim17ROCPRIM_304000_NS6detail28radix_sort_block_sort_kernelINS1_36wrapped_radix_sort_block_sort_configINS0_13kernel_configILj256ELj4ELj4294967295EEElN2at4cuda3cub6detail10OpaqueTypeILi1EEEEELb1EPKlPlPKSB_PSB_NS0_19identity_decomposerEEEvT1_T2_T3_T4_jT5_jj,@function
_ZN7rocprim17ROCPRIM_304000_NS6detail28radix_sort_block_sort_kernelINS1_36wrapped_radix_sort_block_sort_configINS0_13kernel_configILj256ELj4ELj4294967295EEElN2at4cuda3cub6detail10OpaqueTypeILi1EEEEELb1EPKlPlPKSB_PSB_NS0_19identity_decomposerEEEvT1_T2_T3_T4_jT5_jj: ; @_ZN7rocprim17ROCPRIM_304000_NS6detail28radix_sort_block_sort_kernelINS1_36wrapped_radix_sort_block_sort_configINS0_13kernel_configILj256ELj4ELj4294967295EEElN2at4cuda3cub6detail10OpaqueTypeILi1EEEEELb1EPKlPlPKSB_PSB_NS0_19identity_decomposerEEEvT1_T2_T3_T4_jT5_jj
; %bb.0:
	s_load_dword s4, s[0:1], 0x20
	s_load_dwordx8 s[36:43], s[0:1], 0x0
	s_lshl_b32 s28, s2, 10
	s_mov_b32 s29, 0
	v_and_b32_e32 v10, 0x3ff, v0
	s_waitcnt lgkmcnt(0)
	s_lshr_b32 s3, s4, 10
	s_cmp_lg_u32 s2, s3
	s_cselect_b64 s[30:31], -1, 0
	s_lshl_b64 s[34:35], s[28:29], 3
	v_mbcnt_lo_u32_b32 v1, -1, 0
	s_add_u32 s6, s36, s34
	v_mbcnt_hi_u32_b32 v12, -1, v1
	v_lshlrev_b32_e32 v1, 2, v10
	v_mov_b32_e32 v13, 0
	s_addc_u32 s7, s37, s35
	v_and_b32_e32 v14, 0x300, v1
	v_lshlrev_b32_e32 v2, 3, v12
	v_mov_b32_e32 v3, v13
	v_lshl_add_u64 v[2:3], s[6:7], 0, v[2:3]
	v_lshlrev_b32_e32 v4, 3, v14
	v_mov_b32_e32 v5, v13
	s_cmp_eq_u32 s2, s3
	v_mov_b32_e32 v15, v13
	v_lshl_add_u64 v[16:17], v[2:3], 0, v[4:5]
	v_add_u32_e32 v18, v12, v14
	s_cbranch_scc1 .LBB0_2
; %bb.1:
	s_add_u32 s2, s40, s28
	s_addc_u32 s3, s41, 0
	v_lshl_add_u64 v[20:21], s[2:3], 0, v[12:13]
	v_lshl_add_u64 v[20:21], v[20:21], 0, v[14:15]
	global_load_dwordx2 v[2:3], v[16:17], off
	global_load_dwordx2 v[4:5], v[16:17], off offset:512
	global_load_dwordx2 v[6:7], v[16:17], off offset:1024
	;; [unrolled: 1-line block ×3, first 2 shown]
	global_load_ubyte v43, v[20:21], off
	global_load_ubyte v44, v[20:21], off offset:64
	global_load_ubyte v45, v[20:21], off offset:128
	;; [unrolled: 1-line block ×3, first 2 shown]
	v_add_u32_e32 v28, v12, v14
	v_add_u32_e32 v11, 64, v28
	v_add_u32_e32 v26, 0x80, v28
	v_add_u32_e32 v27, 0xc0, v28
	s_sub_i32 s29, s4, s28
	s_cbranch_execz .LBB0_3
	s_branch .LBB0_17
.LBB0_2:
                                        ; implicit-def: $vgpr2_vgpr3_vgpr4_vgpr5_vgpr6_vgpr7_vgpr8_vgpr9
                                        ; implicit-def: $vgpr43
                                        ; implicit-def: $vgpr44
                                        ; implicit-def: $vgpr45
                                        ; implicit-def: $vgpr46
                                        ; implicit-def: $vgpr28
                                        ; implicit-def: $vgpr11
                                        ; implicit-def: $vgpr26
                                        ; implicit-def: $vgpr27
	s_sub_i32 s29, s4, s28
.LBB0_3:
	s_brev_b32 s5, 1
	s_mov_b32 s4, 0
	s_mov_b32 s6, s4
	;; [unrolled: 1-line block ×7, first 2 shown]
	s_waitcnt vmcnt(4)
	v_mov_b64_e32 v[2:3], s[4:5]
	v_cmp_gt_u32_e32 vcc, s29, v18
	v_mov_b64_e32 v[4:5], s[6:7]
	v_mov_b64_e32 v[6:7], s[8:9]
	;; [unrolled: 1-line block ×3, first 2 shown]
	s_and_saveexec_b64 s[2:3], vcc
	s_cbranch_execz .LBB0_5
; %bb.4:
	global_load_dwordx2 v[2:3], v[16:17], off
	v_mov_b32_e32 v4, 0
	v_bfrev_b32_e32 v5, 1
	v_mov_b32_e32 v6, v4
	v_mov_b32_e32 v7, v5
	;; [unrolled: 1-line block ×4, first 2 shown]
.LBB0_5:
	s_or_b64 exec, exec, s[2:3]
	v_add_u32_e32 v11, 64, v18
	v_cmp_gt_u32_e64 s[2:3], s29, v11
	s_and_saveexec_b64 s[4:5], s[2:3]
	s_cbranch_execz .LBB0_7
; %bb.6:
	global_load_dwordx2 v[4:5], v[16:17], off offset:512
.LBB0_7:
	s_or_b64 exec, exec, s[4:5]
	v_add_u32_e32 v26, 0x80, v18
	v_cmp_gt_u32_e64 s[4:5], s29, v26
	s_and_saveexec_b64 s[6:7], s[4:5]
	s_cbranch_execz .LBB0_9
; %bb.8:
	global_load_dwordx2 v[6:7], v[16:17], off offset:1024
.LBB0_9:
	;; [unrolled: 8-line block ×3, first 2 shown]
	s_or_b64 exec, exec, s[8:9]
	s_add_u32 s8, s40, s28
	s_addc_u32 s9, s41, 0
	v_lshl_add_u64 v[16:17], s[8:9], 0, v[12:13]
	v_lshl_add_u64 v[14:15], v[16:17], 0, v[14:15]
                                        ; implicit-def: $vgpr43
	s_and_saveexec_b64 s[8:9], vcc
	s_cbranch_execnz .LBB0_54
; %bb.12:
	s_or_b64 exec, exec, s[8:9]
                                        ; implicit-def: $vgpr44
	s_and_saveexec_b64 s[8:9], s[2:3]
	s_cbranch_execnz .LBB0_55
.LBB0_13:
	s_or_b64 exec, exec, s[8:9]
                                        ; implicit-def: $vgpr45
	s_and_saveexec_b64 s[2:3], s[4:5]
	s_cbranch_execnz .LBB0_56
.LBB0_14:
	s_or_b64 exec, exec, s[2:3]
                                        ; implicit-def: $vgpr46
	s_and_saveexec_b64 s[2:3], s[6:7]
	s_cbranch_execz .LBB0_16
.LBB0_15:
	global_load_ubyte v46, v[14:15], off offset:192
.LBB0_16:
	s_or_b64 exec, exec, s[2:3]
	v_mov_b32_e32 v28, v18
.LBB0_17:
	s_load_dwordx2 s[36:37], s[0:1], 0x28
	s_waitcnt vmcnt(0)
	v_xor_b32_e32 v20, -1, v4
	s_load_dword s0, s[0:1], 0x3c
	v_bfe_u32 v4, v0, 10, 10
	v_bfe_u32 v0, v0, 20, 10
	v_xor_b32_e32 v21, 0x7fffffff, v5
	v_lshlrev_b32_e32 v29, 2, v1
	s_waitcnt lgkmcnt(0)
	s_lshr_b32 s1, s0, 16
	s_and_b32 s0, s0, 0xffff
	v_mad_u32_u24 v0, v0, s1, v4
	v_mad_u64_u32 v[4:5], s[0:1], v0, s0, v[10:11]
	v_and_b32_e32 v0, 15, v12
	v_cmp_eq_u32_e64 s[0:1], 0, v0
	v_cmp_lt_u32_e64 s[2:3], 1, v0
	v_cmp_lt_u32_e64 s[4:5], 3, v0
	;; [unrolled: 1-line block ×3, first 2 shown]
	v_and_b32_e32 v0, 16, v12
	v_cmp_eq_u32_e64 s[8:9], 0, v0
	v_and_b32_e32 v0, 0x3c0, v10
	v_min_u32_e32 v0, 0xc0, v0
	v_or_b32_e32 v0, 63, v0
	v_cmp_eq_u32_e64 s[12:13], v0, v10
	v_add_u32_e32 v0, -1, v12
	v_and_b32_e32 v1, 64, v12
	v_cmp_lt_i32_e32 vcc, v0, v1
	s_mov_b32 s26, 0
	v_and_b32_e32 v1, 3, v12
	v_cndmask_b32_e32 v0, v0, v12, vcc
	v_lshlrev_b32_e32 v31, 2, v0
	v_lshrrev_b32_e32 v0, 4, v10
	v_and_b32_e32 v32, 60, v0
	v_mul_i32_i24_e32 v0, -12, v10
	s_mov_b32 s27, s26
	s_mov_b32 s40, s26
	;; [unrolled: 1-line block ×3, first 2 shown]
	v_xor_b32_e32 v3, 0x7fffffff, v3
	v_xor_b32_e32 v2, -1, v2
	s_add_i32 s33, s37, s36
	v_xor_b32_e32 v23, 0x7fffffff, v7
	v_xor_b32_e32 v22, -1, v6
	v_xor_b32_e32 v25, 0x7fffffff, v9
	v_xor_b32_e32 v24, -1, v8
	v_lshrrev_b32_e32 v30, 6, v4
	v_cmp_lt_u32_e64 s[10:11], 31, v12
	v_cmp_gt_u32_e64 s[14:15], 4, v10
	v_cmp_lt_u32_e64 s[16:17], 63, v10
	v_cmp_eq_u32_e64 s[18:19], 0, v12
	v_cmp_eq_u32_e64 s[20:21], 0, v10
	;; [unrolled: 1-line block ×3, first 2 shown]
	v_cmp_lt_u32_e64 s[24:25], 1, v1
	v_add_u32_e32 v33, -4, v32
	v_lshlrev_b32_e32 v34, 3, v28
	v_lshlrev_b32_e32 v35, 3, v11
	;; [unrolled: 1-line block ×4, first 2 shown]
	v_mov_b64_e32 v[4:5], s[26:27]
	v_add_u32_e32 v42, v29, v0
	v_mov_b64_e32 v[6:7], s[40:41]
	v_mov_b32_e32 v9, 0
	s_branch .LBB0_19
.LBB0_18:                               ;   in Loop: Header=BB0_19 Depth=1
	s_barrier
	ds_write_b64 v48, v[18:19]
	ds_write_b64 v49, v[16:17]
	;; [unrolled: 1-line block ×4, first 2 shown]
	s_waitcnt lgkmcnt(0)
	s_barrier
	ds_read_b64 v[2:3], v34
	ds_read_b64 v[20:21], v35
	;; [unrolled: 1-line block ×4, first 2 shown]
	s_waitcnt lgkmcnt(0)
	s_barrier
	ds_write_b8 v0, v41
	ds_write_b8 v1, v40
	;; [unrolled: 1-line block ×4, first 2 shown]
	s_waitcnt lgkmcnt(0)
	s_barrier
	ds_read_u8 v43, v28
	ds_read_u8 v44, v11
	;; [unrolled: 1-line block ×4, first 2 shown]
	s_add_i32 s37, s37, -8
	s_waitcnt lgkmcnt(0)
	s_barrier
	s_cbranch_execz .LBB0_35
.LBB0_19:                               ; =>This Inner Loop Header: Depth=1
	s_min_u32 s26, s37, 8
	v_mov_b64_e32 v[18:19], v[2:3]
	s_lshl_b32 s26, -1, s26
	s_not_b32 s40, s26
	v_lshrrev_b64 v[0:1], s36, v[18:19]
	v_and_b32_e32 v2, s40, v0
	v_lshl_add_u32 v0, v2, 2, v30
	v_and_b32_e32 v8, 1, v2
	v_mov_b64_e32 v[16:17], v[20:21]
	v_lshl_add_u32 v20, v0, 2, 16
	v_lshl_add_u64 v[0:1], v[8:9], 0, -1
	v_cmp_ne_u32_e32 vcc, 0, v8
	v_mov_b64_e32 v[12:13], v[24:25]
	v_mov_b64_e32 v[14:15], v[22:23]
	v_xor_b32_e32 v1, vcc_hi, v1
	v_xor_b32_e32 v0, vcc_lo, v0
	v_and_b32_e32 v3, exec_hi, v1
	v_and_b32_e32 v8, exec_lo, v0
	v_lshlrev_b32_e32 v1, 30, v2
	v_mov_b32_e32 v0, v9
	v_cmp_gt_i64_e32 vcc, 0, v[0:1]
	v_not_b32_e32 v0, v1
	v_ashrrev_i32_e32 v0, 31, v0
	v_xor_b32_e32 v1, vcc_hi, v0
	v_xor_b32_e32 v0, vcc_lo, v0
	v_and_b32_e32 v3, v3, v1
	v_and_b32_e32 v8, v8, v0
	v_lshlrev_b32_e32 v1, 29, v2
	v_mov_b32_e32 v0, v9
	v_cmp_gt_i64_e32 vcc, 0, v[0:1]
	v_not_b32_e32 v0, v1
	v_ashrrev_i32_e32 v0, 31, v0
	v_xor_b32_e32 v1, vcc_hi, v0
	v_xor_b32_e32 v0, vcc_lo, v0
	v_and_b32_e32 v3, v3, v1
	v_and_b32_e32 v8, v8, v0
	v_lshlrev_b32_e32 v1, 28, v2
	v_mov_b32_e32 v0, v9
	v_cmp_gt_i64_e32 vcc, 0, v[0:1]
	v_not_b32_e32 v0, v1
	v_ashrrev_i32_e32 v0, 31, v0
	v_xor_b32_e32 v1, vcc_hi, v0
	v_xor_b32_e32 v0, vcc_lo, v0
	v_and_b32_e32 v3, v3, v1
	v_and_b32_e32 v8, v8, v0
	v_lshlrev_b32_e32 v1, 27, v2
	v_mov_b32_e32 v0, v9
	v_cmp_gt_i64_e32 vcc, 0, v[0:1]
	v_not_b32_e32 v0, v1
	v_ashrrev_i32_e32 v0, 31, v0
	v_xor_b32_e32 v1, vcc_hi, v0
	v_xor_b32_e32 v0, vcc_lo, v0
	v_and_b32_e32 v3, v3, v1
	v_and_b32_e32 v8, v8, v0
	v_lshlrev_b32_e32 v1, 26, v2
	v_mov_b32_e32 v0, v9
	v_cmp_gt_i64_e32 vcc, 0, v[0:1]
	v_not_b32_e32 v0, v1
	v_ashrrev_i32_e32 v0, 31, v0
	v_xor_b32_e32 v1, vcc_hi, v0
	v_xor_b32_e32 v0, vcc_lo, v0
	v_and_b32_e32 v3, v3, v1
	v_and_b32_e32 v8, v8, v0
	v_lshlrev_b32_e32 v1, 25, v2
	v_mov_b32_e32 v0, v9
	v_cmp_gt_i64_e32 vcc, 0, v[0:1]
	v_not_b32_e32 v0, v1
	v_ashrrev_i32_e32 v0, 31, v0
	v_xor_b32_e32 v1, vcc_hi, v0
	v_xor_b32_e32 v0, vcc_lo, v0
	v_and_b32_e32 v3, v3, v1
	v_and_b32_e32 v8, v8, v0
	v_lshlrev_b32_e32 v1, 24, v2
	v_mov_b32_e32 v0, v9
	v_cmp_gt_i64_e32 vcc, 0, v[0:1]
	v_not_b32_e32 v0, v1
	v_ashrrev_i32_e32 v0, 31, v0
	v_xor_b32_e32 v1, vcc_hi, v0
	v_xor_b32_e32 v0, vcc_lo, v0
	v_and_b32_e32 v0, v8, v0
	v_and_b32_e32 v1, v3, v1
	v_mbcnt_lo_u32_b32 v2, v0, 0
	v_mbcnt_hi_u32_b32 v21, v1, v2
	v_cmp_eq_u32_e32 vcc, 0, v21
	v_cmp_ne_u64_e64 s[26:27], 0, v[0:1]
	v_mov_b32_e32 v41, v43
	v_mov_b32_e32 v40, v44
	;; [unrolled: 1-line block ×4, first 2 shown]
	s_and_b64 s[44:45], s[26:27], vcc
	ds_write2_b64 v29, v[4:5], v[6:7] offset0:2 offset1:3
	s_waitcnt lgkmcnt(0)
	s_barrier
	s_waitcnt lgkmcnt(0)
	; wave barrier
	s_and_saveexec_b64 s[26:27], s[44:45]
	s_cbranch_execz .LBB0_21
; %bb.20:                               ;   in Loop: Header=BB0_19 Depth=1
	v_bcnt_u32_b32 v0, v0, 0
	v_bcnt_u32_b32 v0, v1, v0
	ds_write_b32 v20, v0
.LBB0_21:                               ;   in Loop: Header=BB0_19 Depth=1
	s_or_b64 exec, exec, s[26:27]
	v_lshrrev_b64 v[0:1], s36, v[16:17]
	v_and_b32_e32 v2, s40, v0
	v_lshlrev_b32_e32 v0, 2, v2
	v_add_lshl_u32 v0, v0, v30, 2
	v_and_b32_e32 v8, 1, v2
	; wave barrier
	v_add_u32_e32 v23, 16, v0
	ds_read_b32 v22, v0 offset:16
	v_lshl_add_u64 v[0:1], v[8:9], 0, -1
	v_cmp_ne_u32_e32 vcc, 0, v8
	; wave barrier
	s_nop 1
	v_xor_b32_e32 v1, vcc_hi, v1
	v_xor_b32_e32 v0, vcc_lo, v0
	v_and_b32_e32 v3, exec_hi, v1
	v_and_b32_e32 v8, exec_lo, v0
	v_lshlrev_b32_e32 v1, 30, v2
	v_mov_b32_e32 v0, v9
	v_cmp_gt_i64_e32 vcc, 0, v[0:1]
	v_not_b32_e32 v0, v1
	v_ashrrev_i32_e32 v0, 31, v0
	v_xor_b32_e32 v1, vcc_hi, v0
	v_xor_b32_e32 v0, vcc_lo, v0
	v_and_b32_e32 v3, v3, v1
	v_and_b32_e32 v8, v8, v0
	v_lshlrev_b32_e32 v1, 29, v2
	v_mov_b32_e32 v0, v9
	v_cmp_gt_i64_e32 vcc, 0, v[0:1]
	v_not_b32_e32 v0, v1
	v_ashrrev_i32_e32 v0, 31, v0
	v_xor_b32_e32 v1, vcc_hi, v0
	v_xor_b32_e32 v0, vcc_lo, v0
	v_and_b32_e32 v3, v3, v1
	v_and_b32_e32 v8, v8, v0
	;; [unrolled: 9-line block ×7, first 2 shown]
	v_mbcnt_lo_u32_b32 v2, v0, 0
	v_mbcnt_hi_u32_b32 v24, v1, v2
	v_cmp_eq_u32_e32 vcc, 0, v24
	v_cmp_ne_u64_e64 s[26:27], 0, v[0:1]
	s_and_b64 s[44:45], s[26:27], vcc
	s_and_saveexec_b64 s[26:27], s[44:45]
	s_cbranch_execz .LBB0_23
; %bb.22:                               ;   in Loop: Header=BB0_19 Depth=1
	v_bcnt_u32_b32 v0, v0, 0
	v_bcnt_u32_b32 v0, v1, v0
	s_waitcnt lgkmcnt(0)
	v_add_u32_e32 v0, v22, v0
	ds_write_b32 v23, v0
.LBB0_23:                               ;   in Loop: Header=BB0_19 Depth=1
	s_or_b64 exec, exec, s[26:27]
	v_lshrrev_b64 v[0:1], s36, v[14:15]
	v_and_b32_e32 v2, s40, v0
	v_lshlrev_b32_e32 v0, 2, v2
	v_add_lshl_u32 v0, v0, v30, 2
	v_and_b32_e32 v8, 1, v2
	; wave barrier
	v_add_u32_e32 v43, 16, v0
	ds_read_b32 v25, v0 offset:16
	v_lshl_add_u64 v[0:1], v[8:9], 0, -1
	v_cmp_ne_u32_e32 vcc, 0, v8
	; wave barrier
	s_nop 1
	v_xor_b32_e32 v1, vcc_hi, v1
	v_xor_b32_e32 v0, vcc_lo, v0
	v_and_b32_e32 v3, exec_hi, v1
	v_and_b32_e32 v8, exec_lo, v0
	v_lshlrev_b32_e32 v1, 30, v2
	v_mov_b32_e32 v0, v9
	v_cmp_gt_i64_e32 vcc, 0, v[0:1]
	v_not_b32_e32 v0, v1
	v_ashrrev_i32_e32 v0, 31, v0
	v_xor_b32_e32 v1, vcc_hi, v0
	v_xor_b32_e32 v0, vcc_lo, v0
	v_and_b32_e32 v3, v3, v1
	v_and_b32_e32 v8, v8, v0
	v_lshlrev_b32_e32 v1, 29, v2
	v_mov_b32_e32 v0, v9
	v_cmp_gt_i64_e32 vcc, 0, v[0:1]
	v_not_b32_e32 v0, v1
	v_ashrrev_i32_e32 v0, 31, v0
	v_xor_b32_e32 v1, vcc_hi, v0
	v_xor_b32_e32 v0, vcc_lo, v0
	v_and_b32_e32 v3, v3, v1
	v_and_b32_e32 v8, v8, v0
	;; [unrolled: 9-line block ×7, first 2 shown]
	v_mbcnt_lo_u32_b32 v2, v0, 0
	v_mbcnt_hi_u32_b32 v44, v1, v2
	v_cmp_eq_u32_e32 vcc, 0, v44
	v_cmp_ne_u64_e64 s[26:27], 0, v[0:1]
	s_and_b64 s[44:45], s[26:27], vcc
	s_and_saveexec_b64 s[26:27], s[44:45]
	s_cbranch_execz .LBB0_25
; %bb.24:                               ;   in Loop: Header=BB0_19 Depth=1
	v_bcnt_u32_b32 v0, v0, 0
	v_bcnt_u32_b32 v0, v1, v0
	s_waitcnt lgkmcnt(0)
	v_add_u32_e32 v0, v25, v0
	ds_write_b32 v43, v0
.LBB0_25:                               ;   in Loop: Header=BB0_19 Depth=1
	s_or_b64 exec, exec, s[26:27]
	v_lshrrev_b64 v[0:1], s36, v[12:13]
	v_and_b32_e32 v2, s40, v0
	v_lshlrev_b32_e32 v0, 2, v2
	v_add_lshl_u32 v0, v0, v30, 2
	v_and_b32_e32 v8, 1, v2
	; wave barrier
	v_add_u32_e32 v46, 16, v0
	ds_read_b32 v45, v0 offset:16
	v_lshl_add_u64 v[0:1], v[8:9], 0, -1
	v_cmp_ne_u32_e32 vcc, 0, v8
	; wave barrier
	s_nop 1
	v_xor_b32_e32 v1, vcc_hi, v1
	v_xor_b32_e32 v0, vcc_lo, v0
	v_and_b32_e32 v3, exec_hi, v1
	v_and_b32_e32 v8, exec_lo, v0
	v_lshlrev_b32_e32 v1, 30, v2
	v_mov_b32_e32 v0, v9
	v_cmp_gt_i64_e32 vcc, 0, v[0:1]
	v_not_b32_e32 v0, v1
	v_ashrrev_i32_e32 v0, 31, v0
	v_xor_b32_e32 v1, vcc_hi, v0
	v_xor_b32_e32 v0, vcc_lo, v0
	v_and_b32_e32 v3, v3, v1
	v_and_b32_e32 v8, v8, v0
	v_lshlrev_b32_e32 v1, 29, v2
	v_mov_b32_e32 v0, v9
	v_cmp_gt_i64_e32 vcc, 0, v[0:1]
	v_not_b32_e32 v0, v1
	v_ashrrev_i32_e32 v0, 31, v0
	v_xor_b32_e32 v1, vcc_hi, v0
	v_xor_b32_e32 v0, vcc_lo, v0
	v_and_b32_e32 v3, v3, v1
	v_and_b32_e32 v8, v8, v0
	;; [unrolled: 9-line block ×7, first 2 shown]
	v_mbcnt_lo_u32_b32 v2, v0, 0
	v_mbcnt_hi_u32_b32 v47, v1, v2
	v_cmp_eq_u32_e32 vcc, 0, v47
	v_cmp_ne_u64_e64 s[26:27], 0, v[0:1]
	s_and_b64 s[40:41], s[26:27], vcc
	s_and_saveexec_b64 s[26:27], s[40:41]
	s_cbranch_execz .LBB0_27
; %bb.26:                               ;   in Loop: Header=BB0_19 Depth=1
	v_bcnt_u32_b32 v0, v0, 0
	v_bcnt_u32_b32 v0, v1, v0
	s_waitcnt lgkmcnt(0)
	v_add_u32_e32 v0, v45, v0
	ds_write_b32 v46, v0
.LBB0_27:                               ;   in Loop: Header=BB0_19 Depth=1
	s_or_b64 exec, exec, s[26:27]
	; wave barrier
	s_waitcnt lgkmcnt(0)
	s_barrier
	ds_read2_b64 v[0:3], v29 offset0:2 offset1:3
	s_waitcnt lgkmcnt(0)
	v_add_u32_e32 v8, v1, v0
	v_add3_u32 v3, v8, v2, v3
	s_nop 1
	v_mov_b32_dpp v8, v3 row_shr:1 row_mask:0xf bank_mask:0xf
	v_cndmask_b32_e64 v8, v8, 0, s[0:1]
	v_add_u32_e32 v3, v8, v3
	s_nop 1
	v_mov_b32_dpp v8, v3 row_shr:2 row_mask:0xf bank_mask:0xf
	v_cndmask_b32_e64 v8, 0, v8, s[2:3]
	v_add_u32_e32 v3, v3, v8
	;; [unrolled: 4-line block ×4, first 2 shown]
	s_nop 1
	v_mov_b32_dpp v8, v3 row_bcast:15 row_mask:0xf bank_mask:0xf
	v_cndmask_b32_e64 v8, v8, 0, s[8:9]
	v_add_u32_e32 v3, v3, v8
	s_nop 1
	v_mov_b32_dpp v8, v3 row_bcast:31 row_mask:0xf bank_mask:0xf
	v_cndmask_b32_e64 v8, 0, v8, s[10:11]
	v_add_u32_e32 v3, v3, v8
	s_and_saveexec_b64 s[26:27], s[12:13]
	s_cbranch_execz .LBB0_29
; %bb.28:                               ;   in Loop: Header=BB0_19 Depth=1
	ds_write_b32 v32, v3
.LBB0_29:                               ;   in Loop: Header=BB0_19 Depth=1
	s_or_b64 exec, exec, s[26:27]
	s_waitcnt lgkmcnt(0)
	s_barrier
	s_and_saveexec_b64 s[26:27], s[14:15]
	s_cbranch_execz .LBB0_31
; %bb.30:                               ;   in Loop: Header=BB0_19 Depth=1
	ds_read_b32 v8, v42
	s_waitcnt lgkmcnt(0)
	s_nop 0
	v_mov_b32_dpp v48, v8 row_shr:1 row_mask:0xf bank_mask:0xf
	v_cndmask_b32_e64 v48, v48, 0, s[22:23]
	v_add_u32_e32 v8, v48, v8
	s_nop 1
	v_mov_b32_dpp v48, v8 row_shr:2 row_mask:0xf bank_mask:0xf
	v_cndmask_b32_e64 v48, 0, v48, s[24:25]
	v_add_u32_e32 v8, v8, v48
	ds_write_b32 v42, v8
.LBB0_31:                               ;   in Loop: Header=BB0_19 Depth=1
	s_or_b64 exec, exec, s[26:27]
	v_mov_b32_e32 v8, 0
	s_waitcnt lgkmcnt(0)
	s_barrier
	s_and_saveexec_b64 s[26:27], s[16:17]
	s_cbranch_execz .LBB0_33
; %bb.32:                               ;   in Loop: Header=BB0_19 Depth=1
	ds_read_b32 v8, v33
.LBB0_33:                               ;   in Loop: Header=BB0_19 Depth=1
	s_or_b64 exec, exec, s[26:27]
	s_waitcnt lgkmcnt(0)
	v_add_u32_e32 v3, v8, v3
	ds_bpermute_b32 v3, v31, v3
	s_add_i32 s36, s36, 8
	s_cmp_ge_u32 s36, s33
	s_waitcnt lgkmcnt(0)
	v_cndmask_b32_e64 v3, v3, v8, s[18:19]
	v_cndmask_b32_e64 v48, v3, 0, s[20:21]
	v_add_u32_e32 v49, v48, v0
	v_add_u32_e32 v0, v49, v1
	;; [unrolled: 1-line block ×3, first 2 shown]
	ds_write2_b64 v29, v[48:49], v[0:1] offset0:2 offset1:3
	s_waitcnt lgkmcnt(0)
	s_barrier
	ds_read_b32 v0, v20
	ds_read_b32 v1, v23
	;; [unrolled: 1-line block ×4, first 2 shown]
	s_waitcnt lgkmcnt(0)
	v_add_u32_e32 v0, v0, v21
	v_add3_u32 v1, v24, v22, v1
	v_add3_u32 v8, v44, v25, v2
	;; [unrolled: 1-line block ×3, first 2 shown]
	v_lshlrev_b32_e32 v48, 3, v0
	v_lshlrev_b32_e32 v49, 3, v1
	;; [unrolled: 1-line block ×4, first 2 shown]
	s_cbranch_scc0 .LBB0_18
; %bb.34:
                                        ; implicit-def: $vgpr24_vgpr25
                                        ; implicit-def: $vgpr22_vgpr23
                                        ; implicit-def: $vgpr20_vgpr21
                                        ; implicit-def: $vgpr2_vgpr3
                                        ; implicit-def: $sgpr36
                                        ; implicit-def: $vgpr43
                                        ; implicit-def: $vgpr44
                                        ; implicit-def: $vgpr45
                                        ; implicit-def: $vgpr46
.LBB0_35:
	v_lshlrev_b32_e32 v20, 3, v10
	s_barrier
	ds_write_b64 v48, v[18:19]
	ds_write_b64 v49, v[16:17]
	;; [unrolled: 1-line block ×4, first 2 shown]
	s_waitcnt lgkmcnt(0)
	s_barrier
	ds_read2st64_b64 v[2:5], v20 offset1:4
	ds_read2st64_b64 v[16:19], v20 offset0:8 offset1:12
	s_waitcnt lgkmcnt(0)
	s_barrier
	ds_write_b8 v0, v41
	ds_write_b8 v1, v40
	;; [unrolled: 1-line block ×4, first 2 shown]
	s_waitcnt lgkmcnt(0)
	s_barrier
	ds_read_u8 v15, v10
	ds_read_u8 v14, v10 offset:256
	ds_read_u8 v13, v10 offset:512
	;; [unrolled: 1-line block ×3, first 2 shown]
	s_add_u32 s0, s38, s34
	v_mov_b32_e32 v11, 0
	s_addc_u32 s1, s39, s35
	v_mov_b32_e32 v21, v11
	v_xor_b32_e32 v9, 0x7fffffff, v3
	v_xor_b32_e32 v8, -1, v2
	v_xor_b32_e32 v7, 0x7fffffff, v5
	v_xor_b32_e32 v6, -1, v4
	;; [unrolled: 2-line block ×4, first 2 shown]
	s_andn2_b64 vcc, exec, s[30:31]
	v_lshl_add_u64 v[4:5], s[0:1], 0, v[20:21]
	s_cbranch_vccnz .LBB0_37
; %bb.36:
	v_add_co_u32_e32 v16, vcc, 0x1000, v4
	s_add_u32 s0, s42, s28
	s_nop 0
	v_addc_co_u32_e32 v17, vcc, 0, v5, vcc
	s_addc_u32 s1, s43, 0
	global_store_dwordx2 v[4:5], v[8:9], off
	global_store_dwordx2 v[4:5], v[6:7], off offset:2048
	global_store_dwordx2 v[16:17], v[2:3], off
	global_store_dwordx2 v[16:17], v[0:1], off offset:2048
	v_lshl_add_u64 v[16:17], s[0:1], 0, v[10:11]
	s_mov_b64 s[6:7], -1
	s_waitcnt lgkmcnt(3)
	global_store_byte v[16:17], v15, off
	s_waitcnt lgkmcnt(2)
	global_store_byte v[16:17], v14, off offset:256
	s_waitcnt lgkmcnt(1)
	global_store_byte v[16:17], v13, off offset:512
	s_cbranch_execz .LBB0_38
	s_branch .LBB0_51
.LBB0_37:
	s_mov_b64 s[6:7], 0
.LBB0_38:
	v_cmp_gt_u32_e64 s[0:1], s29, v10
	s_and_saveexec_b64 s[2:3], s[0:1]
	s_cbranch_execz .LBB0_40
; %bb.39:
	global_store_dwordx2 v[4:5], v[8:9], off
.LBB0_40:
	s_or_b64 exec, exec, s[2:3]
	v_add_u32_e32 v8, 0x100, v10
	v_cmp_gt_u32_e64 s[2:3], s29, v8
	s_and_saveexec_b64 s[4:5], s[2:3]
	s_cbranch_execz .LBB0_42
; %bb.41:
	global_store_dwordx2 v[4:5], v[6:7], off offset:2048
.LBB0_42:
	s_or_b64 exec, exec, s[4:5]
	v_add_u32_e32 v6, 0x200, v10
	v_cmp_gt_u32_e64 s[4:5], s29, v6
	s_and_saveexec_b64 s[6:7], s[4:5]
	s_cbranch_execz .LBB0_44
; %bb.43:
	v_add_co_u32_e32 v6, vcc, 0x1000, v4
	s_nop 1
	v_addc_co_u32_e32 v7, vcc, 0, v5, vcc
	global_store_dwordx2 v[6:7], v[2:3], off
.LBB0_44:
	s_or_b64 exec, exec, s[6:7]
	v_add_u32_e32 v2, 0x300, v10
	v_cmp_gt_u32_e64 s[6:7], s29, v2
	s_and_saveexec_b64 s[8:9], s[6:7]
	s_cbranch_execz .LBB0_46
; %bb.45:
	v_add_co_u32_e32 v2, vcc, 0x1000, v4
	s_nop 1
	v_addc_co_u32_e32 v3, vcc, 0, v5, vcc
	global_store_dwordx2 v[2:3], v[0:1], off offset:2048
.LBB0_46:
	s_or_b64 exec, exec, s[8:9]
	s_add_u32 s8, s42, s28
	s_addc_u32 s9, s43, 0
	v_lshl_add_u64 v[0:1], s[8:9], 0, v[10:11]
	s_and_saveexec_b64 s[8:9], s[0:1]
	s_cbranch_execnz .LBB0_57
; %bb.47:
	s_or_b64 exec, exec, s[8:9]
	s_and_saveexec_b64 s[0:1], s[2:3]
	s_cbranch_execnz .LBB0_58
.LBB0_48:
	s_or_b64 exec, exec, s[0:1]
	s_and_saveexec_b64 s[0:1], s[4:5]
	s_cbranch_execz .LBB0_50
.LBB0_49:
	s_waitcnt lgkmcnt(1)
	global_store_byte v[0:1], v13, off offset:512
.LBB0_50:
	s_or_b64 exec, exec, s[0:1]
.LBB0_51:
	s_and_saveexec_b64 s[0:1], s[6:7]
	s_cbranch_execnz .LBB0_53
; %bb.52:
	s_endpgm
.LBB0_53:
	s_add_u32 s0, s42, s28
	s_addc_u32 s1, s43, 0
	v_lshl_add_u64 v[0:1], s[0:1], 0, v[10:11]
	s_waitcnt lgkmcnt(0)
	global_store_byte v[0:1], v12, off offset:768
	s_endpgm
.LBB0_54:
	global_load_ubyte v43, v[14:15], off
	s_or_b64 exec, exec, s[8:9]
                                        ; implicit-def: $vgpr44
	s_and_saveexec_b64 s[8:9], s[2:3]
	s_cbranch_execz .LBB0_13
.LBB0_55:
	global_load_ubyte v44, v[14:15], off offset:64
	s_or_b64 exec, exec, s[8:9]
                                        ; implicit-def: $vgpr45
	s_and_saveexec_b64 s[2:3], s[4:5]
	s_cbranch_execz .LBB0_14
.LBB0_56:
	global_load_ubyte v45, v[14:15], off offset:128
	s_or_b64 exec, exec, s[2:3]
                                        ; implicit-def: $vgpr46
	s_and_saveexec_b64 s[2:3], s[6:7]
	s_cbranch_execnz .LBB0_15
	s_branch .LBB0_16
.LBB0_57:
	s_waitcnt lgkmcnt(3)
	global_store_byte v[0:1], v15, off
	s_or_b64 exec, exec, s[8:9]
	s_and_saveexec_b64 s[0:1], s[2:3]
	s_cbranch_execz .LBB0_48
.LBB0_58:
	s_waitcnt lgkmcnt(2)
	global_store_byte v[0:1], v14, off offset:256
	s_or_b64 exec, exec, s[0:1]
	s_and_saveexec_b64 s[0:1], s[4:5]
	s_cbranch_execnz .LBB0_49
	s_branch .LBB0_50
	.section	.rodata,"a",@progbits
	.p2align	6, 0x0
	.amdhsa_kernel _ZN7rocprim17ROCPRIM_304000_NS6detail28radix_sort_block_sort_kernelINS1_36wrapped_radix_sort_block_sort_configINS0_13kernel_configILj256ELj4ELj4294967295EEElN2at4cuda3cub6detail10OpaqueTypeILi1EEEEELb1EPKlPlPKSB_PSB_NS0_19identity_decomposerEEEvT1_T2_T3_T4_jT5_jj
		.amdhsa_group_segment_fixed_size 8192
		.amdhsa_private_segment_fixed_size 0
		.amdhsa_kernarg_size 304
		.amdhsa_user_sgpr_count 2
		.amdhsa_user_sgpr_dispatch_ptr 0
		.amdhsa_user_sgpr_queue_ptr 0
		.amdhsa_user_sgpr_kernarg_segment_ptr 1
		.amdhsa_user_sgpr_dispatch_id 0
		.amdhsa_user_sgpr_kernarg_preload_length 0
		.amdhsa_user_sgpr_kernarg_preload_offset 0
		.amdhsa_user_sgpr_private_segment_size 0
		.amdhsa_uses_dynamic_stack 0
		.amdhsa_enable_private_segment 0
		.amdhsa_system_sgpr_workgroup_id_x 1
		.amdhsa_system_sgpr_workgroup_id_y 0
		.amdhsa_system_sgpr_workgroup_id_z 0
		.amdhsa_system_sgpr_workgroup_info 0
		.amdhsa_system_vgpr_workitem_id 2
		.amdhsa_next_free_vgpr 52
		.amdhsa_next_free_sgpr 46
		.amdhsa_accum_offset 52
		.amdhsa_reserve_vcc 1
		.amdhsa_float_round_mode_32 0
		.amdhsa_float_round_mode_16_64 0
		.amdhsa_float_denorm_mode_32 3
		.amdhsa_float_denorm_mode_16_64 3
		.amdhsa_dx10_clamp 1
		.amdhsa_ieee_mode 1
		.amdhsa_fp16_overflow 0
		.amdhsa_tg_split 0
		.amdhsa_exception_fp_ieee_invalid_op 0
		.amdhsa_exception_fp_denorm_src 0
		.amdhsa_exception_fp_ieee_div_zero 0
		.amdhsa_exception_fp_ieee_overflow 0
		.amdhsa_exception_fp_ieee_underflow 0
		.amdhsa_exception_fp_ieee_inexact 0
		.amdhsa_exception_int_div_zero 0
	.end_amdhsa_kernel
	.section	.text._ZN7rocprim17ROCPRIM_304000_NS6detail28radix_sort_block_sort_kernelINS1_36wrapped_radix_sort_block_sort_configINS0_13kernel_configILj256ELj4ELj4294967295EEElN2at4cuda3cub6detail10OpaqueTypeILi1EEEEELb1EPKlPlPKSB_PSB_NS0_19identity_decomposerEEEvT1_T2_T3_T4_jT5_jj,"axG",@progbits,_ZN7rocprim17ROCPRIM_304000_NS6detail28radix_sort_block_sort_kernelINS1_36wrapped_radix_sort_block_sort_configINS0_13kernel_configILj256ELj4ELj4294967295EEElN2at4cuda3cub6detail10OpaqueTypeILi1EEEEELb1EPKlPlPKSB_PSB_NS0_19identity_decomposerEEEvT1_T2_T3_T4_jT5_jj,comdat
.Lfunc_end0:
	.size	_ZN7rocprim17ROCPRIM_304000_NS6detail28radix_sort_block_sort_kernelINS1_36wrapped_radix_sort_block_sort_configINS0_13kernel_configILj256ELj4ELj4294967295EEElN2at4cuda3cub6detail10OpaqueTypeILi1EEEEELb1EPKlPlPKSB_PSB_NS0_19identity_decomposerEEEvT1_T2_T3_T4_jT5_jj, .Lfunc_end0-_ZN7rocprim17ROCPRIM_304000_NS6detail28radix_sort_block_sort_kernelINS1_36wrapped_radix_sort_block_sort_configINS0_13kernel_configILj256ELj4ELj4294967295EEElN2at4cuda3cub6detail10OpaqueTypeILi1EEEEELb1EPKlPlPKSB_PSB_NS0_19identity_decomposerEEEvT1_T2_T3_T4_jT5_jj
                                        ; -- End function
	.section	.AMDGPU.csdata,"",@progbits
; Kernel info:
; codeLenInByte = 3928
; NumSgprs: 52
; NumVgprs: 52
; NumAgprs: 0
; TotalNumVgprs: 52
; ScratchSize: 0
; MemoryBound: 1
; FloatMode: 240
; IeeeMode: 1
; LDSByteSize: 8192 bytes/workgroup (compile time only)
; SGPRBlocks: 6
; VGPRBlocks: 6
; NumSGPRsForWavesPerEU: 52
; NumVGPRsForWavesPerEU: 52
; AccumOffset: 52
; Occupancy: 8
; WaveLimiterHint : 1
; COMPUTE_PGM_RSRC2:SCRATCH_EN: 0
; COMPUTE_PGM_RSRC2:USER_SGPR: 2
; COMPUTE_PGM_RSRC2:TRAP_HANDLER: 0
; COMPUTE_PGM_RSRC2:TGID_X_EN: 1
; COMPUTE_PGM_RSRC2:TGID_Y_EN: 0
; COMPUTE_PGM_RSRC2:TGID_Z_EN: 0
; COMPUTE_PGM_RSRC2:TIDIG_COMP_CNT: 2
; COMPUTE_PGM_RSRC3_GFX90A:ACCUM_OFFSET: 12
; COMPUTE_PGM_RSRC3_GFX90A:TG_SPLIT: 0
	.section	.text._ZN7rocprim17ROCPRIM_304000_NS6detail39device_merge_sort_compile_time_verifierINS1_36wrapped_merge_sort_block_sort_configINS1_28merge_sort_block_sort_configILj256ELj4ELNS0_20block_sort_algorithmE0EEElN2at4cuda3cub6detail10OpaqueTypeILi1EEEEENS1_37wrapped_merge_sort_block_merge_configINS0_14default_configElSC_EEEEvv,"axG",@progbits,_ZN7rocprim17ROCPRIM_304000_NS6detail39device_merge_sort_compile_time_verifierINS1_36wrapped_merge_sort_block_sort_configINS1_28merge_sort_block_sort_configILj256ELj4ELNS0_20block_sort_algorithmE0EEElN2at4cuda3cub6detail10OpaqueTypeILi1EEEEENS1_37wrapped_merge_sort_block_merge_configINS0_14default_configElSC_EEEEvv,comdat
	.protected	_ZN7rocprim17ROCPRIM_304000_NS6detail39device_merge_sort_compile_time_verifierINS1_36wrapped_merge_sort_block_sort_configINS1_28merge_sort_block_sort_configILj256ELj4ELNS0_20block_sort_algorithmE0EEElN2at4cuda3cub6detail10OpaqueTypeILi1EEEEENS1_37wrapped_merge_sort_block_merge_configINS0_14default_configElSC_EEEEvv ; -- Begin function _ZN7rocprim17ROCPRIM_304000_NS6detail39device_merge_sort_compile_time_verifierINS1_36wrapped_merge_sort_block_sort_configINS1_28merge_sort_block_sort_configILj256ELj4ELNS0_20block_sort_algorithmE0EEElN2at4cuda3cub6detail10OpaqueTypeILi1EEEEENS1_37wrapped_merge_sort_block_merge_configINS0_14default_configElSC_EEEEvv
	.globl	_ZN7rocprim17ROCPRIM_304000_NS6detail39device_merge_sort_compile_time_verifierINS1_36wrapped_merge_sort_block_sort_configINS1_28merge_sort_block_sort_configILj256ELj4ELNS0_20block_sort_algorithmE0EEElN2at4cuda3cub6detail10OpaqueTypeILi1EEEEENS1_37wrapped_merge_sort_block_merge_configINS0_14default_configElSC_EEEEvv
	.p2align	8
	.type	_ZN7rocprim17ROCPRIM_304000_NS6detail39device_merge_sort_compile_time_verifierINS1_36wrapped_merge_sort_block_sort_configINS1_28merge_sort_block_sort_configILj256ELj4ELNS0_20block_sort_algorithmE0EEElN2at4cuda3cub6detail10OpaqueTypeILi1EEEEENS1_37wrapped_merge_sort_block_merge_configINS0_14default_configElSC_EEEEvv,@function
_ZN7rocprim17ROCPRIM_304000_NS6detail39device_merge_sort_compile_time_verifierINS1_36wrapped_merge_sort_block_sort_configINS1_28merge_sort_block_sort_configILj256ELj4ELNS0_20block_sort_algorithmE0EEElN2at4cuda3cub6detail10OpaqueTypeILi1EEEEENS1_37wrapped_merge_sort_block_merge_configINS0_14default_configElSC_EEEEvv: ; @_ZN7rocprim17ROCPRIM_304000_NS6detail39device_merge_sort_compile_time_verifierINS1_36wrapped_merge_sort_block_sort_configINS1_28merge_sort_block_sort_configILj256ELj4ELNS0_20block_sort_algorithmE0EEElN2at4cuda3cub6detail10OpaqueTypeILi1EEEEENS1_37wrapped_merge_sort_block_merge_configINS0_14default_configElSC_EEEEvv
; %bb.0:
	s_endpgm
	.section	.rodata,"a",@progbits
	.p2align	6, 0x0
	.amdhsa_kernel _ZN7rocprim17ROCPRIM_304000_NS6detail39device_merge_sort_compile_time_verifierINS1_36wrapped_merge_sort_block_sort_configINS1_28merge_sort_block_sort_configILj256ELj4ELNS0_20block_sort_algorithmE0EEElN2at4cuda3cub6detail10OpaqueTypeILi1EEEEENS1_37wrapped_merge_sort_block_merge_configINS0_14default_configElSC_EEEEvv
		.amdhsa_group_segment_fixed_size 0
		.amdhsa_private_segment_fixed_size 0
		.amdhsa_kernarg_size 0
		.amdhsa_user_sgpr_count 0
		.amdhsa_user_sgpr_dispatch_ptr 0
		.amdhsa_user_sgpr_queue_ptr 0
		.amdhsa_user_sgpr_kernarg_segment_ptr 0
		.amdhsa_user_sgpr_dispatch_id 0
		.amdhsa_user_sgpr_kernarg_preload_length 0
		.amdhsa_user_sgpr_kernarg_preload_offset 0
		.amdhsa_user_sgpr_private_segment_size 0
		.amdhsa_uses_dynamic_stack 0
		.amdhsa_enable_private_segment 0
		.amdhsa_system_sgpr_workgroup_id_x 1
		.amdhsa_system_sgpr_workgroup_id_y 0
		.amdhsa_system_sgpr_workgroup_id_z 0
		.amdhsa_system_sgpr_workgroup_info 0
		.amdhsa_system_vgpr_workitem_id 0
		.amdhsa_next_free_vgpr 1
		.amdhsa_next_free_sgpr 0
		.amdhsa_accum_offset 4
		.amdhsa_reserve_vcc 0
		.amdhsa_float_round_mode_32 0
		.amdhsa_float_round_mode_16_64 0
		.amdhsa_float_denorm_mode_32 3
		.amdhsa_float_denorm_mode_16_64 3
		.amdhsa_dx10_clamp 1
		.amdhsa_ieee_mode 1
		.amdhsa_fp16_overflow 0
		.amdhsa_tg_split 0
		.amdhsa_exception_fp_ieee_invalid_op 0
		.amdhsa_exception_fp_denorm_src 0
		.amdhsa_exception_fp_ieee_div_zero 0
		.amdhsa_exception_fp_ieee_overflow 0
		.amdhsa_exception_fp_ieee_underflow 0
		.amdhsa_exception_fp_ieee_inexact 0
		.amdhsa_exception_int_div_zero 0
	.end_amdhsa_kernel
	.section	.text._ZN7rocprim17ROCPRIM_304000_NS6detail39device_merge_sort_compile_time_verifierINS1_36wrapped_merge_sort_block_sort_configINS1_28merge_sort_block_sort_configILj256ELj4ELNS0_20block_sort_algorithmE0EEElN2at4cuda3cub6detail10OpaqueTypeILi1EEEEENS1_37wrapped_merge_sort_block_merge_configINS0_14default_configElSC_EEEEvv,"axG",@progbits,_ZN7rocprim17ROCPRIM_304000_NS6detail39device_merge_sort_compile_time_verifierINS1_36wrapped_merge_sort_block_sort_configINS1_28merge_sort_block_sort_configILj256ELj4ELNS0_20block_sort_algorithmE0EEElN2at4cuda3cub6detail10OpaqueTypeILi1EEEEENS1_37wrapped_merge_sort_block_merge_configINS0_14default_configElSC_EEEEvv,comdat
.Lfunc_end1:
	.size	_ZN7rocprim17ROCPRIM_304000_NS6detail39device_merge_sort_compile_time_verifierINS1_36wrapped_merge_sort_block_sort_configINS1_28merge_sort_block_sort_configILj256ELj4ELNS0_20block_sort_algorithmE0EEElN2at4cuda3cub6detail10OpaqueTypeILi1EEEEENS1_37wrapped_merge_sort_block_merge_configINS0_14default_configElSC_EEEEvv, .Lfunc_end1-_ZN7rocprim17ROCPRIM_304000_NS6detail39device_merge_sort_compile_time_verifierINS1_36wrapped_merge_sort_block_sort_configINS1_28merge_sort_block_sort_configILj256ELj4ELNS0_20block_sort_algorithmE0EEElN2at4cuda3cub6detail10OpaqueTypeILi1EEEEENS1_37wrapped_merge_sort_block_merge_configINS0_14default_configElSC_EEEEvv
                                        ; -- End function
	.section	.AMDGPU.csdata,"",@progbits
; Kernel info:
; codeLenInByte = 4
; NumSgprs: 6
; NumVgprs: 0
; NumAgprs: 0
; TotalNumVgprs: 0
; ScratchSize: 0
; MemoryBound: 0
; FloatMode: 240
; IeeeMode: 1
; LDSByteSize: 0 bytes/workgroup (compile time only)
; SGPRBlocks: 0
; VGPRBlocks: 0
; NumSGPRsForWavesPerEU: 6
; NumVGPRsForWavesPerEU: 1
; AccumOffset: 4
; Occupancy: 8
; WaveLimiterHint : 0
; COMPUTE_PGM_RSRC2:SCRATCH_EN: 0
; COMPUTE_PGM_RSRC2:USER_SGPR: 0
; COMPUTE_PGM_RSRC2:TRAP_HANDLER: 0
; COMPUTE_PGM_RSRC2:TGID_X_EN: 1
; COMPUTE_PGM_RSRC2:TGID_Y_EN: 0
; COMPUTE_PGM_RSRC2:TGID_Z_EN: 0
; COMPUTE_PGM_RSRC2:TIDIG_COMP_CNT: 0
; COMPUTE_PGM_RSRC3_GFX90A:ACCUM_OFFSET: 0
; COMPUTE_PGM_RSRC3_GFX90A:TG_SPLIT: 0
	.section	.text._ZN7rocprim17ROCPRIM_304000_NS6detail45device_block_merge_mergepath_partition_kernelINS1_37wrapped_merge_sort_block_merge_configINS0_14default_configElN2at4cuda3cub6detail10OpaqueTypeILi1EEEEEPljNS1_19radix_merge_compareILb1ELb0ElNS0_19identity_decomposerEEEEEvT0_T1_jPSH_T2_SH_,"axG",@progbits,_ZN7rocprim17ROCPRIM_304000_NS6detail45device_block_merge_mergepath_partition_kernelINS1_37wrapped_merge_sort_block_merge_configINS0_14default_configElN2at4cuda3cub6detail10OpaqueTypeILi1EEEEEPljNS1_19radix_merge_compareILb1ELb0ElNS0_19identity_decomposerEEEEEvT0_T1_jPSH_T2_SH_,comdat
	.protected	_ZN7rocprim17ROCPRIM_304000_NS6detail45device_block_merge_mergepath_partition_kernelINS1_37wrapped_merge_sort_block_merge_configINS0_14default_configElN2at4cuda3cub6detail10OpaqueTypeILi1EEEEEPljNS1_19radix_merge_compareILb1ELb0ElNS0_19identity_decomposerEEEEEvT0_T1_jPSH_T2_SH_ ; -- Begin function _ZN7rocprim17ROCPRIM_304000_NS6detail45device_block_merge_mergepath_partition_kernelINS1_37wrapped_merge_sort_block_merge_configINS0_14default_configElN2at4cuda3cub6detail10OpaqueTypeILi1EEEEEPljNS1_19radix_merge_compareILb1ELb0ElNS0_19identity_decomposerEEEEEvT0_T1_jPSH_T2_SH_
	.globl	_ZN7rocprim17ROCPRIM_304000_NS6detail45device_block_merge_mergepath_partition_kernelINS1_37wrapped_merge_sort_block_merge_configINS0_14default_configElN2at4cuda3cub6detail10OpaqueTypeILi1EEEEEPljNS1_19radix_merge_compareILb1ELb0ElNS0_19identity_decomposerEEEEEvT0_T1_jPSH_T2_SH_
	.p2align	8
	.type	_ZN7rocprim17ROCPRIM_304000_NS6detail45device_block_merge_mergepath_partition_kernelINS1_37wrapped_merge_sort_block_merge_configINS0_14default_configElN2at4cuda3cub6detail10OpaqueTypeILi1EEEEEPljNS1_19radix_merge_compareILb1ELb0ElNS0_19identity_decomposerEEEEEvT0_T1_jPSH_T2_SH_,@function
_ZN7rocprim17ROCPRIM_304000_NS6detail45device_block_merge_mergepath_partition_kernelINS1_37wrapped_merge_sort_block_merge_configINS0_14default_configElN2at4cuda3cub6detail10OpaqueTypeILi1EEEEEPljNS1_19radix_merge_compareILb1ELb0ElNS0_19identity_decomposerEEEEEvT0_T1_jPSH_T2_SH_: ; @_ZN7rocprim17ROCPRIM_304000_NS6detail45device_block_merge_mergepath_partition_kernelINS1_37wrapped_merge_sort_block_merge_configINS0_14default_configElN2at4cuda3cub6detail10OpaqueTypeILi1EEEEEPljNS1_19radix_merge_compareILb1ELb0ElNS0_19identity_decomposerEEEEEvT0_T1_jPSH_T2_SH_
; %bb.0:
	s_load_dwordx2 s[4:5], s[0:1], 0x8
	v_lshl_or_b32 v0, s2, 7, v0
	s_waitcnt lgkmcnt(0)
	v_cmp_gt_u32_e32 vcc, s5, v0
	s_and_saveexec_b64 s[2:3], vcc
	s_cbranch_execz .LBB2_6
; %bb.1:
	s_load_dword s2, s[0:1], 0x1c
	s_waitcnt lgkmcnt(0)
	s_lshr_b32 s3, s2, 9
	s_and_b32 s3, s3, 0x7ffffe
	s_add_i32 s5, s3, -1
	s_sub_i32 s3, 0, s3
	v_and_b32_e32 v1, s3, v0
	v_and_b32_e32 v2, s5, v0
	v_lshlrev_b32_e32 v1, 10, v1
	v_lshlrev_b32_e32 v3, 10, v2
	v_min_u32_e32 v2, s4, v1
	v_add_u32_e32 v1, s2, v1
	v_min_u32_e32 v4, s4, v1
	v_add_u32_e32 v1, s2, v4
	v_min_u32_e32 v1, s4, v1
	v_sub_u32_e32 v5, v1, v2
	v_min_u32_e32 v10, v5, v3
	v_sub_u32_e32 v3, v4, v2
	v_sub_u32_e32 v1, v1, v4
	v_sub_u32_e64 v1, v10, v1 clamp
	v_min_u32_e32 v11, v10, v3
	v_cmp_lt_u32_e32 vcc, v1, v11
	s_and_saveexec_b64 s[2:3], vcc
	s_cbranch_execz .LBB2_5
; %bb.2:
	s_load_dwordx2 s[4:5], s[0:1], 0x0
	v_mov_b32_e32 v5, 0
	v_mov_b32_e32 v3, v5
	s_waitcnt lgkmcnt(0)
	v_lshl_add_u64 v[6:7], v[2:3], 3, s[4:5]
	v_lshl_add_u64 v[8:9], v[4:5], 3, s[4:5]
	s_mov_b64 s[4:5], 0
.LBB2_3:                                ; =>This Inner Loop Header: Depth=1
	v_add_u32_e32 v3, v11, v1
	v_lshrrev_b32_e32 v4, 1, v3
	v_mov_b32_e32 v13, v5
	v_xad_u32 v12, v4, -1, v10
	v_lshl_add_u64 v[14:15], v[4:5], 3, v[6:7]
	v_lshl_add_u64 v[12:13], v[12:13], 3, v[8:9]
	global_load_dwordx2 v[16:17], v[14:15], off
	global_load_dwordx2 v[18:19], v[12:13], off
	v_add_u32_e32 v3, 1, v4
	s_waitcnt vmcnt(0)
	v_cmp_gt_i64_e32 vcc, v[18:19], v[16:17]
	s_nop 1
	v_cndmask_b32_e32 v11, v11, v4, vcc
	v_cndmask_b32_e32 v1, v3, v1, vcc
	v_cmp_ge_u32_e32 vcc, v1, v11
	s_or_b64 s[4:5], vcc, s[4:5]
	s_andn2_b64 exec, exec, s[4:5]
	s_cbranch_execnz .LBB2_3
; %bb.4:
	s_or_b64 exec, exec, s[4:5]
.LBB2_5:
	s_or_b64 exec, exec, s[2:3]
	s_load_dwordx2 s[0:1], s[0:1], 0x10
	v_add_u32_e32 v2, v1, v2
	v_mov_b32_e32 v1, 0
	s_waitcnt lgkmcnt(0)
	v_lshl_add_u64 v[0:1], v[0:1], 2, s[0:1]
	global_store_dword v[0:1], v2, off
.LBB2_6:
	s_endpgm
	.section	.rodata,"a",@progbits
	.p2align	6, 0x0
	.amdhsa_kernel _ZN7rocprim17ROCPRIM_304000_NS6detail45device_block_merge_mergepath_partition_kernelINS1_37wrapped_merge_sort_block_merge_configINS0_14default_configElN2at4cuda3cub6detail10OpaqueTypeILi1EEEEEPljNS1_19radix_merge_compareILb1ELb0ElNS0_19identity_decomposerEEEEEvT0_T1_jPSH_T2_SH_
		.amdhsa_group_segment_fixed_size 0
		.amdhsa_private_segment_fixed_size 0
		.amdhsa_kernarg_size 32
		.amdhsa_user_sgpr_count 2
		.amdhsa_user_sgpr_dispatch_ptr 0
		.amdhsa_user_sgpr_queue_ptr 0
		.amdhsa_user_sgpr_kernarg_segment_ptr 1
		.amdhsa_user_sgpr_dispatch_id 0
		.amdhsa_user_sgpr_kernarg_preload_length 0
		.amdhsa_user_sgpr_kernarg_preload_offset 0
		.amdhsa_user_sgpr_private_segment_size 0
		.amdhsa_uses_dynamic_stack 0
		.amdhsa_enable_private_segment 0
		.amdhsa_system_sgpr_workgroup_id_x 1
		.amdhsa_system_sgpr_workgroup_id_y 0
		.amdhsa_system_sgpr_workgroup_id_z 0
		.amdhsa_system_sgpr_workgroup_info 0
		.amdhsa_system_vgpr_workitem_id 0
		.amdhsa_next_free_vgpr 20
		.amdhsa_next_free_sgpr 6
		.amdhsa_accum_offset 20
		.amdhsa_reserve_vcc 1
		.amdhsa_float_round_mode_32 0
		.amdhsa_float_round_mode_16_64 0
		.amdhsa_float_denorm_mode_32 3
		.amdhsa_float_denorm_mode_16_64 3
		.amdhsa_dx10_clamp 1
		.amdhsa_ieee_mode 1
		.amdhsa_fp16_overflow 0
		.amdhsa_tg_split 0
		.amdhsa_exception_fp_ieee_invalid_op 0
		.amdhsa_exception_fp_denorm_src 0
		.amdhsa_exception_fp_ieee_div_zero 0
		.amdhsa_exception_fp_ieee_overflow 0
		.amdhsa_exception_fp_ieee_underflow 0
		.amdhsa_exception_fp_ieee_inexact 0
		.amdhsa_exception_int_div_zero 0
	.end_amdhsa_kernel
	.section	.text._ZN7rocprim17ROCPRIM_304000_NS6detail45device_block_merge_mergepath_partition_kernelINS1_37wrapped_merge_sort_block_merge_configINS0_14default_configElN2at4cuda3cub6detail10OpaqueTypeILi1EEEEEPljNS1_19radix_merge_compareILb1ELb0ElNS0_19identity_decomposerEEEEEvT0_T1_jPSH_T2_SH_,"axG",@progbits,_ZN7rocprim17ROCPRIM_304000_NS6detail45device_block_merge_mergepath_partition_kernelINS1_37wrapped_merge_sort_block_merge_configINS0_14default_configElN2at4cuda3cub6detail10OpaqueTypeILi1EEEEEPljNS1_19radix_merge_compareILb1ELb0ElNS0_19identity_decomposerEEEEEvT0_T1_jPSH_T2_SH_,comdat
.Lfunc_end2:
	.size	_ZN7rocprim17ROCPRIM_304000_NS6detail45device_block_merge_mergepath_partition_kernelINS1_37wrapped_merge_sort_block_merge_configINS0_14default_configElN2at4cuda3cub6detail10OpaqueTypeILi1EEEEEPljNS1_19radix_merge_compareILb1ELb0ElNS0_19identity_decomposerEEEEEvT0_T1_jPSH_T2_SH_, .Lfunc_end2-_ZN7rocprim17ROCPRIM_304000_NS6detail45device_block_merge_mergepath_partition_kernelINS1_37wrapped_merge_sort_block_merge_configINS0_14default_configElN2at4cuda3cub6detail10OpaqueTypeILi1EEEEEPljNS1_19radix_merge_compareILb1ELb0ElNS0_19identity_decomposerEEEEEvT0_T1_jPSH_T2_SH_
                                        ; -- End function
	.section	.AMDGPU.csdata,"",@progbits
; Kernel info:
; codeLenInByte = 320
; NumSgprs: 12
; NumVgprs: 20
; NumAgprs: 0
; TotalNumVgprs: 20
; ScratchSize: 0
; MemoryBound: 0
; FloatMode: 240
; IeeeMode: 1
; LDSByteSize: 0 bytes/workgroup (compile time only)
; SGPRBlocks: 1
; VGPRBlocks: 2
; NumSGPRsForWavesPerEU: 12
; NumVGPRsForWavesPerEU: 20
; AccumOffset: 20
; Occupancy: 8
; WaveLimiterHint : 0
; COMPUTE_PGM_RSRC2:SCRATCH_EN: 0
; COMPUTE_PGM_RSRC2:USER_SGPR: 2
; COMPUTE_PGM_RSRC2:TRAP_HANDLER: 0
; COMPUTE_PGM_RSRC2:TGID_X_EN: 1
; COMPUTE_PGM_RSRC2:TGID_Y_EN: 0
; COMPUTE_PGM_RSRC2:TGID_Z_EN: 0
; COMPUTE_PGM_RSRC2:TIDIG_COMP_CNT: 0
; COMPUTE_PGM_RSRC3_GFX90A:ACCUM_OFFSET: 4
; COMPUTE_PGM_RSRC3_GFX90A:TG_SPLIT: 0
	.section	.text._ZN7rocprim17ROCPRIM_304000_NS6detail35device_block_merge_mergepath_kernelINS1_37wrapped_merge_sort_block_merge_configINS0_14default_configElN2at4cuda3cub6detail10OpaqueTypeILi1EEEEEPlSC_PSA_SD_jNS1_19radix_merge_compareILb1ELb0ElNS0_19identity_decomposerEEEEEvT0_T1_T2_T3_T4_SL_jT5_PKSL_NS1_7vsmem_tE,"axG",@progbits,_ZN7rocprim17ROCPRIM_304000_NS6detail35device_block_merge_mergepath_kernelINS1_37wrapped_merge_sort_block_merge_configINS0_14default_configElN2at4cuda3cub6detail10OpaqueTypeILi1EEEEEPlSC_PSA_SD_jNS1_19radix_merge_compareILb1ELb0ElNS0_19identity_decomposerEEEEEvT0_T1_T2_T3_T4_SL_jT5_PKSL_NS1_7vsmem_tE,comdat
	.protected	_ZN7rocprim17ROCPRIM_304000_NS6detail35device_block_merge_mergepath_kernelINS1_37wrapped_merge_sort_block_merge_configINS0_14default_configElN2at4cuda3cub6detail10OpaqueTypeILi1EEEEEPlSC_PSA_SD_jNS1_19radix_merge_compareILb1ELb0ElNS0_19identity_decomposerEEEEEvT0_T1_T2_T3_T4_SL_jT5_PKSL_NS1_7vsmem_tE ; -- Begin function _ZN7rocprim17ROCPRIM_304000_NS6detail35device_block_merge_mergepath_kernelINS1_37wrapped_merge_sort_block_merge_configINS0_14default_configElN2at4cuda3cub6detail10OpaqueTypeILi1EEEEEPlSC_PSA_SD_jNS1_19radix_merge_compareILb1ELb0ElNS0_19identity_decomposerEEEEEvT0_T1_T2_T3_T4_SL_jT5_PKSL_NS1_7vsmem_tE
	.globl	_ZN7rocprim17ROCPRIM_304000_NS6detail35device_block_merge_mergepath_kernelINS1_37wrapped_merge_sort_block_merge_configINS0_14default_configElN2at4cuda3cub6detail10OpaqueTypeILi1EEEEEPlSC_PSA_SD_jNS1_19radix_merge_compareILb1ELb0ElNS0_19identity_decomposerEEEEEvT0_T1_T2_T3_T4_SL_jT5_PKSL_NS1_7vsmem_tE
	.p2align	8
	.type	_ZN7rocprim17ROCPRIM_304000_NS6detail35device_block_merge_mergepath_kernelINS1_37wrapped_merge_sort_block_merge_configINS0_14default_configElN2at4cuda3cub6detail10OpaqueTypeILi1EEEEEPlSC_PSA_SD_jNS1_19radix_merge_compareILb1ELb0ElNS0_19identity_decomposerEEEEEvT0_T1_T2_T3_T4_SL_jT5_PKSL_NS1_7vsmem_tE,@function
_ZN7rocprim17ROCPRIM_304000_NS6detail35device_block_merge_mergepath_kernelINS1_37wrapped_merge_sort_block_merge_configINS0_14default_configElN2at4cuda3cub6detail10OpaqueTypeILi1EEEEEPlSC_PSA_SD_jNS1_19radix_merge_compareILb1ELb0ElNS0_19identity_decomposerEEEEEvT0_T1_T2_T3_T4_SL_jT5_PKSL_NS1_7vsmem_tE: ; @_ZN7rocprim17ROCPRIM_304000_NS6detail35device_block_merge_mergepath_kernelINS1_37wrapped_merge_sort_block_merge_configINS0_14default_configElN2at4cuda3cub6detail10OpaqueTypeILi1EEEEEPlSC_PSA_SD_jNS1_19radix_merge_compareILb1ELb0ElNS0_19identity_decomposerEEEEEvT0_T1_T2_T3_T4_SL_jT5_PKSL_NS1_7vsmem_tE
; %bb.0:
	s_load_dwordx2 s[26:27], s[0:1], 0x40
	s_load_dwordx4 s[12:15], s[0:1], 0x20
	s_add_u32 s24, s0, 64
	s_addc_u32 s25, s1, 0
	s_waitcnt lgkmcnt(0)
	s_mul_i32 s4, s27, s4
	s_add_i32 s3, s4, s3
	s_mul_i32 s3, s3, s26
	s_add_i32 s22, s3, s2
	s_cmp_ge_u32 s22, s14
	s_cbranch_scc1 .LBB3_69
; %bb.1:
	s_load_dwordx8 s[4:11], s[0:1], 0x0
	s_load_dwordx2 s[14:15], s[0:1], 0x30
	s_lshr_b32 s27, s12, 10
	s_cmp_lg_u32 s22, s27
	s_mov_b32 s23, 0
	s_cselect_b64 s[16:17], -1, 0
	s_lshl_b64 s[0:1], s[22:23], 2
	s_waitcnt lgkmcnt(0)
	s_add_u32 s0, s14, s0
	s_addc_u32 s1, s15, s1
	s_load_dwordx2 s[18:19], s[0:1], 0x0
	s_lshr_b32 s0, s13, 9
	s_and_b32 s0, s0, 0x7ffffe
	s_sub_i32 s0, 0, s0
	s_and_b32 s1, s22, s0
	s_lshl_b32 s3, s1, 10
	s_lshl_b32 s14, s22, 10
	;; [unrolled: 1-line block ×3, first 2 shown]
	s_sub_i32 s15, s14, s3
	s_add_i32 s1, s1, s13
	s_add_i32 s15, s1, s15
	s_waitcnt lgkmcnt(0)
	s_sub_i32 s20, s15, s18
	s_sub_i32 s15, s15, s19
	;; [unrolled: 1-line block ×3, first 2 shown]
	s_min_u32 s20, s12, s20
	s_addk_i32 s15, 0x400
	s_or_b32 s0, s22, s0
	s_min_u32 s3, s12, s1
	s_add_i32 s1, s1, s13
	s_cmp_eq_u32 s0, -1
	s_cselect_b32 s0, s1, s15
	s_cselect_b32 s1, s3, s19
	s_min_u32 s0, s0, s12
	s_mov_b32 s19, s23
	s_sub_i32 s15, s1, s18
	s_sub_i32 s28, s0, s20
	s_lshl_b64 s[0:1], s[18:19], 3
	s_add_u32 s0, s4, s0
	s_mov_b32 s21, s23
	s_addc_u32 s1, s5, s1
	s_lshl_b64 s[30:31], s[20:21], 3
	s_add_u32 s4, s4, s30
	s_addc_u32 s5, s5, s31
	s_cmp_lt_u32 s2, s26
	v_mov_b32_e32 v11, 0
	s_cselect_b32 s2, 12, 18
	global_load_dword v1, v11, s[24:25] offset:14
	s_add_u32 s2, s24, s2
	s_addc_u32 s3, s25, 0
	global_load_ushort v2, v11, s[2:3]
	v_cmp_gt_u32_e32 vcc, s15, v0
	s_cmp_eq_u32 s22, s27
	v_lshlrev_b32_e32 v10, 3, v0
	s_waitcnt vmcnt(1)
	v_lshrrev_b32_e32 v3, 16, v1
	v_and_b32_e32 v1, 0xffff, v1
	v_mul_lo_u32 v1, v1, v3
	s_waitcnt vmcnt(0)
	v_mul_lo_u32 v1, v1, v2
	v_add_u32_e32 v14, v1, v0
	v_add_u32_e32 v12, v14, v1
	s_cbranch_scc1 .LBB3_3
; %bb.2:
	v_subrev_u32_e32 v4, s15, v0
	v_mov_b32_e32 v5, v11
	v_lshl_add_u64 v[2:3], s[0:1], 0, v[10:11]
	v_lshl_add_u64 v[4:5], v[4:5], 3, s[4:5]
	v_mov_b32_e32 v15, v11
	v_subrev_u32_e32 v6, s15, v14
	v_mov_b32_e32 v7, v11
	v_cndmask_b32_e32 v3, v5, v3, vcc
	v_cndmask_b32_e32 v2, v4, v2, vcc
	v_lshl_add_u64 v[4:5], v[14:15], 3, s[0:1]
	v_lshl_add_u64 v[6:7], v[6:7], 3, s[4:5]
	v_cmp_gt_u32_e32 vcc, s15, v14
	v_mov_b32_e32 v13, v11
	v_subrev_u32_e32 v8, s15, v12
	v_mov_b32_e32 v9, v11
	v_cndmask_b32_e32 v5, v7, v5, vcc
	v_cndmask_b32_e32 v4, v6, v4, vcc
	v_lshl_add_u64 v[6:7], v[12:13], 3, s[0:1]
	v_lshl_add_u64 v[8:9], v[8:9], 3, s[4:5]
	v_cmp_gt_u32_e32 vcc, s15, v12
	v_mov_b32_e32 v19, v11
	global_load_dwordx2 v[2:3], v[2:3], off
	v_cndmask_b32_e32 v6, v8, v6, vcc
	v_add_u32_e32 v8, v12, v1
	v_cndmask_b32_e32 v7, v9, v7, vcc
	v_mov_b32_e32 v9, v11
	v_subrev_u32_e32 v18, s15, v8
	v_lshl_add_u64 v[16:17], v[8:9], 3, s[0:1]
	v_lshl_add_u64 v[18:19], v[18:19], 3, s[4:5]
	v_cmp_gt_u32_e32 vcc, s15, v8
	global_load_dwordx2 v[4:5], v[4:5], off
	s_add_i32 s13, s28, s15
	v_cndmask_b32_e32 v9, v19, v17, vcc
	v_cndmask_b32_e32 v8, v18, v16, vcc
	global_load_dwordx2 v[6:7], v[6:7], off
	s_nop 0
	global_load_dwordx2 v[8:9], v[8:9], off
	s_cbranch_execz .LBB3_4
	s_branch .LBB3_11
.LBB3_3:
                                        ; implicit-def: $vgpr2_vgpr3_vgpr4_vgpr5_vgpr6_vgpr7_vgpr8_vgpr9
                                        ; implicit-def: $sgpr13
.LBB3_4:
	s_add_i32 s13, s28, s15
	v_cmp_gt_u32_e32 vcc, s13, v0
                                        ; implicit-def: $vgpr2_vgpr3_vgpr4_vgpr5_vgpr6_vgpr7_vgpr8_vgpr9
	s_and_saveexec_b64 s[2:3], vcc
	s_cbranch_execnz .LBB3_70
; %bb.5:
	s_or_b64 exec, exec, s[2:3]
	v_cmp_gt_u32_e32 vcc, s13, v14
	s_and_saveexec_b64 s[2:3], vcc
	s_cbranch_execnz .LBB3_71
.LBB3_6:
	s_or_b64 exec, exec, s[2:3]
	v_cmp_gt_u32_e32 vcc, s13, v12
	s_and_saveexec_b64 s[2:3], vcc
	s_cbranch_execz .LBB3_8
.LBB3_7:
	v_mov_b32_e32 v13, 0
	v_subrev_u32_e32 v14, s15, v12
	v_mov_b32_e32 v15, v13
	s_waitcnt vmcnt(1)
	v_lshl_add_u64 v[6:7], v[12:13], 3, s[0:1]
	v_lshl_add_u64 v[14:15], v[14:15], 3, s[4:5]
	v_cmp_gt_u32_e32 vcc, s15, v12
	s_nop 1
	v_cndmask_b32_e32 v7, v15, v7, vcc
	v_cndmask_b32_e32 v6, v14, v6, vcc
	global_load_dwordx2 v[6:7], v[6:7], off
.LBB3_8:
	s_or_b64 exec, exec, s[2:3]
	v_add_u32_e32 v12, v12, v1
	v_cmp_gt_u32_e32 vcc, s13, v12
	s_and_saveexec_b64 s[2:3], vcc
	s_cbranch_execz .LBB3_10
; %bb.9:
	v_mov_b32_e32 v13, 0
	s_waitcnt vmcnt(0)
	v_lshl_add_u64 v[8:9], v[12:13], 3, s[0:1]
	v_cmp_gt_u32_e32 vcc, s15, v12
	v_subrev_u32_e32 v12, s15, v12
	v_lshl_add_u64 v[12:13], v[12:13], 3, s[4:5]
	v_cndmask_b32_e32 v9, v13, v9, vcc
	v_cndmask_b32_e32 v8, v12, v8, vcc
	global_load_dwordx2 v[8:9], v[8:9], off
.LBB3_10:
	s_or_b64 exec, exec, s[2:3]
.LBB3_11:
	v_lshlrev_b32_e32 v11, 2, v0
	v_min_u32_e32 v12, s13, v11
	v_sub_u32_e64 v1, v12, s28 clamp
	v_min_u32_e32 v13, s15, v12
	v_cmp_lt_u32_e32 vcc, v1, v13
	s_waitcnt vmcnt(0)
	ds_write2st64_b64 v10, v[2:3], v[4:5] offset1:4
	ds_write2st64_b64 v10, v[6:7], v[8:9] offset0:8 offset1:12
	s_waitcnt lgkmcnt(0)
	s_barrier
	s_and_saveexec_b64 s[0:1], vcc
	s_cbranch_execz .LBB3_15
; %bb.12:
	v_lshlrev_b32_e32 v14, 3, v12
	v_lshl_add_u32 v14, s15, 3, v14
	s_mov_b64 s[2:3], 0
.LBB3_13:                               ; =>This Inner Loop Header: Depth=1
	v_add_u32_e32 v15, v13, v1
	v_lshrrev_b32_e32 v15, 1, v15
	v_not_b32_e32 v16, v15
	v_lshlrev_b32_e32 v17, 3, v15
	v_lshl_add_u32 v18, v16, 3, v14
	ds_read_b64 v[16:17], v17
	ds_read_b64 v[18:19], v18
	v_add_u32_e32 v20, 1, v15
	s_waitcnt lgkmcnt(0)
	v_cmp_gt_i64_e32 vcc, v[18:19], v[16:17]
	s_nop 1
	v_cndmask_b32_e32 v13, v13, v15, vcc
	v_cndmask_b32_e32 v1, v20, v1, vcc
	v_cmp_ge_u32_e32 vcc, v1, v13
	s_or_b64 s[2:3], vcc, s[2:3]
	s_andn2_b64 exec, exec, s[2:3]
	s_cbranch_execnz .LBB3_13
; %bb.14:
	s_or_b64 exec, exec, s[2:3]
.LBB3_15:
	s_or_b64 exec, exec, s[0:1]
	v_sub_u32_e32 v12, v12, v1
	v_add_u32_e32 v12, s15, v12
	v_cmp_ge_u32_e32 vcc, s15, v1
	v_cmp_ge_u32_e64 s[0:1], s13, v12
	s_or_b64 s[0:1], vcc, s[0:1]
                                        ; implicit-def: $vgpr19
                                        ; implicit-def: $vgpr21
                                        ; implicit-def: $vgpr20
                                        ; implicit-def: $vgpr18
	s_and_saveexec_b64 s[22:23], s[0:1]
	s_cbranch_execz .LBB3_21
; %bb.16:
	v_cmp_gt_u32_e32 vcc, s15, v1
                                        ; implicit-def: $vgpr2_vgpr3
	s_and_saveexec_b64 s[0:1], vcc
	s_cbranch_execz .LBB3_18
; %bb.17:
	v_lshlrev_b32_e32 v2, 3, v1
	ds_read_b64 v[2:3], v2
.LBB3_18:
	s_or_b64 exec, exec, s[0:1]
	v_cmp_le_u32_e64 s[0:1], s13, v12
	v_cmp_gt_u32_e64 s[2:3], s13, v12
                                        ; implicit-def: $vgpr4_vgpr5
	s_and_saveexec_b64 s[4:5], s[2:3]
	s_cbranch_execz .LBB3_20
; %bb.19:
	v_lshlrev_b32_e32 v4, 3, v12
	ds_read_b64 v[4:5], v4
.LBB3_20:
	s_or_b64 exec, exec, s[4:5]
	s_waitcnt lgkmcnt(0)
	v_cmp_le_i64_e64 s[2:3], v[4:5], v[2:3]
	s_and_b64 s[2:3], vcc, s[2:3]
	s_or_b64 vcc, s[0:1], s[2:3]
	v_mov_b32_e32 v16, s13
	v_mov_b32_e32 v17, s15
	v_cndmask_b32_e32 v18, v12, v1, vcc
	v_cndmask_b32_e32 v6, v16, v17, vcc
	v_add_u32_e32 v13, 1, v18
	v_add_u32_e32 v6, -1, v6
	v_min_u32_e32 v6, v13, v6
	v_lshlrev_b32_e32 v6, 3, v6
	ds_read_b64 v[6:7], v6
	v_cndmask_b32_e32 v1, v1, v13, vcc
	v_cndmask_b32_e32 v19, v13, v12, vcc
	v_cmp_gt_u32_e64 s[2:3], s15, v1
	v_cmp_le_u32_e64 s[0:1], s13, v19
	s_waitcnt lgkmcnt(0)
	v_cndmask_b32_e32 v9, v7, v5, vcc
	v_cndmask_b32_e32 v8, v6, v4, vcc
	v_cndmask_b32_e32 v7, v3, v7, vcc
	v_cndmask_b32_e32 v6, v2, v6, vcc
	v_cmp_le_i64_e64 s[4:5], v[8:9], v[6:7]
	s_and_b64 s[2:3], s[2:3], s[4:5]
	s_or_b64 s[0:1], s[0:1], s[2:3]
	v_cndmask_b32_e64 v20, v19, v1, s[0:1]
	v_cndmask_b32_e64 v12, v16, v17, s[0:1]
	v_add_u32_e32 v21, 1, v20
	v_add_u32_e32 v12, -1, v12
	v_min_u32_e32 v12, v21, v12
	v_lshlrev_b32_e32 v12, 3, v12
	ds_read_b64 v[12:13], v12
	v_cndmask_b32_e64 v1, v1, v21, s[0:1]
	v_cndmask_b32_e64 v19, v21, v19, s[0:1]
	v_cmp_gt_u32_e64 s[2:3], s15, v1
	v_cndmask_b32_e32 v3, v5, v3, vcc
	s_waitcnt lgkmcnt(0)
	v_cndmask_b32_e64 v15, v13, v9, s[0:1]
	v_cndmask_b32_e64 v14, v12, v8, s[0:1]
	v_cndmask_b32_e64 v13, v7, v13, s[0:1]
	v_cndmask_b32_e64 v12, v6, v12, s[0:1]
	v_cmp_le_i64_e64 s[4:5], v[14:15], v[12:13]
	v_cndmask_b32_e32 v2, v4, v2, vcc
	v_cmp_le_u32_e32 vcc, s13, v19
	s_and_b64 s[2:3], s[2:3], s[4:5]
	s_or_b64 vcc, vcc, s[2:3]
	v_cndmask_b32_e32 v21, v19, v1, vcc
	v_cndmask_b32_e32 v4, v16, v17, vcc
	v_add_u32_e32 v22, 1, v21
	v_add_u32_e32 v4, -1, v4
	v_min_u32_e32 v4, v22, v4
	v_lshlrev_b32_e32 v4, 3, v4
	ds_read_b64 v[16:17], v4
	v_cndmask_b32_e64 v5, v9, v7, s[0:1]
	v_cndmask_b32_e64 v4, v8, v6, s[0:1]
	v_cndmask_b32_e32 v7, v15, v13, vcc
	v_cndmask_b32_e32 v6, v14, v12, vcc
	s_waitcnt lgkmcnt(0)
	v_cndmask_b32_e32 v9, v17, v15, vcc
	v_cndmask_b32_e32 v8, v16, v14, vcc
	;; [unrolled: 1-line block ×6, first 2 shown]
	v_cmp_gt_u32_e64 s[0:1], s15, v1
	v_cmp_le_i64_e64 s[2:3], v[8:9], v[12:13]
	v_cmp_le_u32_e32 vcc, s13, v14
	s_and_b64 s[0:1], s[0:1], s[2:3]
	s_or_b64 vcc, vcc, s[0:1]
	v_cndmask_b32_e32 v19, v14, v1, vcc
	v_cndmask_b32_e32 v9, v9, v13, vcc
	;; [unrolled: 1-line block ×3, first 2 shown]
.LBB3_21:
	s_or_b64 exec, exec, s[22:23]
	s_add_u32 s24, s8, s18
	s_addc_u32 s25, s9, 0
	v_mov_b32_e32 v1, 0
	s_add_u32 s22, s8, s20
	v_cndmask_b32_e64 v12, 0, 1, s[16:17]
	s_addc_u32 s23, s9, 0
	v_cmp_gt_u32_e64 s[4:5], s15, v0
	v_cmp_le_u32_e64 s[2:3], s15, v0
	v_cmp_ne_u32_e64 s[0:1], 1, v12
	s_andn2_b64 vcc, exec, s[16:17]
	v_lshl_add_u64 v[12:13], s[24:25], 0, v[0:1]
	s_barrier
	s_cbranch_vccnz .LBB3_23
; %bb.22:
	v_subrev_u32_e32 v14, s15, v0
	v_mov_b32_e32 v15, v1
	v_lshl_add_u64 v[14:15], s[22:23], 0, v[14:15]
	v_lshl_add_u64 v[22:23], s[24:25], 0, v[0:1]
	v_or_b32_e32 v25, 0x100, v0
	v_cndmask_b32_e64 v15, v15, v23, s[4:5]
	v_cndmask_b32_e64 v14, v14, v22, s[4:5]
	s_mov_b64 s[4:5], 0x100
	v_subrev_u32_e32 v16, s15, v25
	v_mov_b32_e32 v17, v1
	global_load_ubyte v24, v[14:15], off
	v_lshl_add_u64 v[14:15], v[22:23], 0, s[4:5]
	v_lshl_add_u64 v[16:17], s[22:23], 0, v[16:17]
	v_cmp_gt_u32_e32 vcc, s15, v25
	v_or_b32_e32 v26, 0x200, v0
	s_mov_b64 s[4:5], 0x200
	v_cndmask_b32_e32 v15, v17, v15, vcc
	v_cndmask_b32_e32 v14, v16, v14, vcc
	v_subrev_u32_e32 v16, s15, v26
	v_mov_b32_e32 v17, v1
	global_load_ubyte v25, v[14:15], off
	v_lshl_add_u64 v[14:15], v[22:23], 0, s[4:5]
	v_lshl_add_u64 v[16:17], s[22:23], 0, v[16:17]
	v_cmp_gt_u32_e32 vcc, s15, v26
	s_mov_b64 s[4:5], 0x300
	v_lshl_add_u64 v[22:23], v[22:23], 0, s[4:5]
	v_cndmask_b32_e32 v15, v17, v15, vcc
	v_cndmask_b32_e32 v14, v16, v14, vcc
	global_load_ubyte v17, v[14:15], off
	v_or_b32_e32 v16, 0x300, v0
	v_mov_b32_e32 v15, v1
	v_subrev_u32_e32 v14, s15, v16
	v_lshl_add_u64 v[14:15], s[22:23], 0, v[14:15]
	v_cmp_gt_u32_e32 vcc, s15, v16
	s_mov_b64 s[4:5], -1
	s_nop 0
	v_cndmask_b32_e32 v15, v15, v23, vcc
	v_cndmask_b32_e32 v14, v14, v22, vcc
	s_waitcnt vmcnt(2)
	ds_write_b8 v0, v24
	s_waitcnt vmcnt(1)
	ds_write_b8 v0, v25 offset:256
	s_waitcnt vmcnt(0)
	ds_write_b8 v0, v17 offset:512
	s_cbranch_execz .LBB3_24
	s_branch .LBB3_43
.LBB3_23:
	s_mov_b64 s[4:5], 0
                                        ; implicit-def: $vgpr16
                                        ; implicit-def: $vgpr14_vgpr15
.LBB3_24:
	s_mov_b64 s[24:25], 0
                                        ; implicit-def: $vgpr14_vgpr15
	s_and_saveexec_b64 s[26:27], s[2:3]
	s_xor_b64 s[2:3], exec, s[26:27]
	s_cbranch_execnz .LBB3_72
; %bb.25:
	s_andn2_saveexec_b64 s[2:3], s[2:3]
	s_cbranch_execnz .LBB3_75
.LBB3_26:
	s_or_b64 exec, exec, s[2:3]
	s_and_saveexec_b64 s[2:3], s[24:25]
	s_cbranch_execz .LBB3_28
.LBB3_27:
	global_load_ubyte v1, v[14:15], off
	s_waitcnt vmcnt(0)
	ds_write_b8 v0, v1
.LBB3_28:
	s_or_b64 exec, exec, s[2:3]
	v_or_b32_e32 v14, 0x100, v0
	v_cmp_le_u32_e32 vcc, s15, v14
	s_mov_b64 s[2:3], -1
	v_mov_b64_e32 v[16:17], s[18:19]
	s_and_saveexec_b64 s[24:25], vcc
; %bb.29:
	v_subrev_u32_e32 v14, s15, v14
	v_cmp_gt_u32_e32 vcc, s28, v14
	v_mov_b64_e32 v[16:17], s[20:21]
	s_orn2_b64 s[2:3], vcc, exec
; %bb.30:
	s_or_b64 exec, exec, s[24:25]
	s_and_saveexec_b64 s[24:25], s[2:3]
	s_cbranch_execz .LBB3_32
; %bb.31:
	v_lshl_add_u64 v[16:17], s[8:9], 0, v[16:17]
	v_mov_b32_e32 v15, 0
	v_lshl_add_u64 v[14:15], v[16:17], 0, v[14:15]
	global_load_ubyte v1, v[14:15], off
	s_waitcnt vmcnt(0)
	ds_write_b8 v0, v1 offset:256
.LBB3_32:
	s_or_b64 exec, exec, s[24:25]
	v_or_b32_e32 v14, 0x200, v0
	v_cmp_le_u32_e32 vcc, s15, v14
	s_mov_b64 s[2:3], -1
	v_mov_b64_e32 v[16:17], s[18:19]
	s_and_saveexec_b64 s[18:19], vcc
; %bb.33:
	v_subrev_u32_e32 v14, s15, v14
	v_cmp_gt_u32_e32 vcc, s28, v14
	v_mov_b64_e32 v[16:17], s[20:21]
	s_orn2_b64 s[2:3], vcc, exec
; %bb.34:
	s_or_b64 exec, exec, s[18:19]
	s_and_saveexec_b64 s[18:19], s[2:3]
	s_cbranch_execz .LBB3_36
; %bb.35:
	v_lshl_add_u64 v[16:17], s[8:9], 0, v[16:17]
	v_mov_b32_e32 v15, 0
	v_lshl_add_u64 v[14:15], v[16:17], 0, v[14:15]
	global_load_ubyte v1, v[14:15], off
	s_waitcnt vmcnt(0)
	ds_write_b8 v0, v1 offset:512
.LBB3_36:
	s_or_b64 exec, exec, s[18:19]
	v_or_b32_e32 v1, 0x300, v0
	v_cmp_le_u32_e32 vcc, s15, v1
                                        ; implicit-def: $vgpr16
                                        ; implicit-def: $vgpr14_vgpr15
	s_and_saveexec_b64 s[2:3], vcc
	s_xor_b64 s[2:3], exec, s[2:3]
	s_cbranch_execz .LBB3_40
; %bb.37:
	v_subrev_u32_e32 v12, s15, v1
	v_cmp_gt_u32_e32 vcc, s28, v12
	s_mov_b64 s[8:9], s[4:5]
                                        ; implicit-def: $vgpr16
                                        ; implicit-def: $vgpr14_vgpr15
	s_and_saveexec_b64 s[18:19], vcc
; %bb.38:
	v_mov_b32_e32 v13, 0
	v_or_b32_e32 v16, 0x300, v0
	v_lshl_add_u64 v[14:15], s[22:23], 0, v[12:13]
	s_or_b64 s[8:9], s[4:5], exec
; %bb.39:
	s_or_b64 exec, exec, s[18:19]
	s_andn2_b64 s[4:5], s[4:5], exec
	s_and_b64 s[8:9], s[8:9], exec
	s_or_b64 s[4:5], s[4:5], s[8:9]
                                        ; implicit-def: $vgpr12_vgpr13
.LBB3_40:
	s_andn2_saveexec_b64 s[2:3], s[2:3]
; %bb.41:
	s_mov_b64 s[8:9], 0x300
	v_lshl_add_u64 v[14:15], v[12:13], 0, s[8:9]
	v_or_b32_e32 v16, 0x300, v0
	s_or_b64 s[4:5], s[4:5], exec
; %bb.42:
	s_or_b64 exec, exec, s[2:3]
.LBB3_43:
	s_and_saveexec_b64 s[2:3], s[4:5]
	s_cbranch_execz .LBB3_45
; %bb.44:
	global_load_ubyte v1, v[14:15], off
	s_waitcnt vmcnt(0)
	ds_write_b8 v16, v1
.LBB3_45:
	s_or_b64 exec, exec, s[2:3]
	s_and_b64 vcc, exec, s[0:1]
	v_add_u32_e32 v12, s14, v11
	s_waitcnt lgkmcnt(0)
	s_barrier
	s_cbranch_vccnz .LBB3_47
; %bb.46:
	ds_read_u8 v1, v20
	ds_read_u8 v14, v21
	;; [unrolled: 1-line block ×3, first 2 shown]
	v_mov_b32_e32 v13, 0
	s_waitcnt lgkmcnt(2)
	v_lshlrev_b16_e32 v1, 8, v1
	s_mov_b64 s[0:1], -1
	s_waitcnt lgkmcnt(0)
	v_or_b32_e32 v1, v15, v1
	global_store_byte v12, v14, s[10:11] offset:2
	global_store_short v12, v1, s[10:11]
	s_cbranch_execz .LBB3_48
	s_branch .LBB3_57
.LBB3_47:
	s_mov_b64 s[0:1], 0
.LBB3_48:
	v_cmp_gt_u32_e32 vcc, s13, v11
	s_and_saveexec_b64 s[2:3], vcc
	s_cbranch_execz .LBB3_50
; %bb.49:
	ds_read_u8 v1, v18
	s_waitcnt lgkmcnt(0)
	global_store_byte v12, v1, s[10:11]
.LBB3_50:
	s_or_b64 exec, exec, s[2:3]
	v_or_b32_e32 v1, 1, v11
	v_cmp_gt_u32_e32 vcc, s13, v1
	s_and_saveexec_b64 s[2:3], vcc
	s_cbranch_execz .LBB3_52
; %bb.51:
	ds_read_u8 v1, v20
	s_waitcnt lgkmcnt(0)
	global_store_byte v12, v1, s[10:11] offset:1
.LBB3_52:
	s_or_b64 exec, exec, s[2:3]
	v_or_b32_e32 v1, 2, v11
	v_cmp_gt_u32_e32 vcc, s13, v1
	s_and_saveexec_b64 s[2:3], vcc
	s_cbranch_execz .LBB3_54
; %bb.53:
	ds_read_u8 v1, v21
	s_waitcnt lgkmcnt(0)
	global_store_byte v12, v1, s[10:11] offset:2
.LBB3_54:
	s_or_b64 exec, exec, s[2:3]
	v_or_b32_e32 v1, 3, v11
	v_cmp_gt_u32_e32 vcc, s13, v1
	s_and_saveexec_b64 s[2:3], vcc
; %bb.55:
	v_mov_b32_e32 v13, 0
	s_or_b64 s[0:1], s[0:1], exec
; %bb.56:
	s_or_b64 exec, exec, s[2:3]
.LBB3_57:
	s_and_saveexec_b64 s[2:3], s[0:1]
	s_cbranch_execz .LBB3_59
; %bb.58:
	ds_read_u8 v1, v19
	v_lshl_add_u64 v[12:13], s[10:11], 0, v[12:13]
	s_waitcnt lgkmcnt(0)
	global_store_byte v[12:13], v1, off offset:3
.LBB3_59:
	s_or_b64 exec, exec, s[2:3]
	v_and_b32_e32 v1, 0xf8, v0
	v_lshl_add_u32 v1, v11, 3, v1
	s_barrier
	s_barrier
	ds_write2_b64 v1, v[2:3], v[4:5] offset1:1
	ds_write2_b64 v1, v[6:7], v[8:9] offset0:2 offset1:3
	v_lshrrev_b32_e32 v1, 2, v0
	v_and_b32_e32 v1, 56, v1
	v_or_b32_e32 v12, 0x100, v0
	v_add_u32_e32 v13, v10, v1
	v_lshrrev_b32_e32 v1, 2, v12
	v_and_b32_e32 v1, 0x78, v1
	v_or_b32_e32 v11, 0x200, v0
	v_add_u32_e32 v6, v10, v1
	v_lshrrev_b32_e32 v1, 2, v11
	v_and_b32_e32 v1, 0xb8, v1
	s_mov_b32 s15, 0
	v_add_u32_e32 v7, v10, v1
	v_or_b32_e32 v1, 0x300, v0
	s_lshl_b64 s[0:1], s[14:15], 3
	v_lshrrev_b32_e32 v2, 2, v1
	s_add_u32 s0, s6, s0
	v_and_b32_e32 v2, 0xf8, v2
	s_addc_u32 s1, s7, s1
	v_add_u32_e32 v10, v10, v2
	v_lshlrev_b32_e32 v2, 3, v0
	v_mov_b32_e32 v3, 0
	v_lshl_add_u64 v[2:3], s[0:1], 0, v[2:3]
	s_and_b64 vcc, exec, s[16:17]
	s_waitcnt lgkmcnt(0)
	s_cbranch_vccz .LBB3_61
; %bb.60:
	s_barrier
	ds_read_b64 v[8:9], v13
	ds_read_b64 v[14:15], v6 offset:2048
	ds_read_b64 v[16:17], v7 offset:4096
	ds_read_b64 v[4:5], v10 offset:6144
	s_waitcnt lgkmcnt(3)
	global_store_dwordx2 v[2:3], v[8:9], off
	s_waitcnt lgkmcnt(2)
	global_store_dwordx2 v[2:3], v[14:15], off offset:2048
	v_add_co_u32_e32 v8, vcc, 0x1000, v2
	s_nop 1
	v_addc_co_u32_e32 v9, vcc, 0, v3, vcc
	s_waitcnt lgkmcnt(1)
	global_store_dwordx2 v[8:9], v[16:17], off
	s_mov_b64 s[0:1], -1
	s_cbranch_execz .LBB3_62
	s_branch .LBB3_67
.LBB3_61:
	s_mov_b64 s[0:1], 0
                                        ; implicit-def: $vgpr4_vgpr5
.LBB3_62:
	s_barrier
	s_waitcnt lgkmcnt(0)
	ds_read_b64 v[8:9], v6 offset:2048
	ds_read_b64 v[6:7], v7 offset:4096
	;; [unrolled: 1-line block ×3, first 2 shown]
	s_sub_i32 s2, s12, s14
	v_cmp_gt_u32_e32 vcc, s2, v0
	s_and_saveexec_b64 s[0:1], vcc
	s_cbranch_execnz .LBB3_76
; %bb.63:
	s_or_b64 exec, exec, s[0:1]
	v_cmp_gt_u32_e32 vcc, s2, v12
	s_and_saveexec_b64 s[0:1], vcc
	s_cbranch_execnz .LBB3_77
.LBB3_64:
	s_or_b64 exec, exec, s[0:1]
	v_cmp_gt_u32_e32 vcc, s2, v11
	s_and_saveexec_b64 s[0:1], vcc
	s_cbranch_execz .LBB3_66
.LBB3_65:
	s_waitcnt lgkmcnt(2)
	v_add_co_u32_e32 v8, vcc, 0x1000, v2
	s_nop 1
	v_addc_co_u32_e32 v9, vcc, 0, v3, vcc
	s_waitcnt lgkmcnt(1)
	global_store_dwordx2 v[8:9], v[6:7], off
.LBB3_66:
	s_or_b64 exec, exec, s[0:1]
	v_cmp_gt_u32_e64 s[0:1], s2, v1
.LBB3_67:
	s_and_saveexec_b64 s[2:3], s[0:1]
	s_cbranch_execz .LBB3_69
; %bb.68:
	v_add_co_u32_e32 v0, vcc, 0x1000, v2
	s_nop 1
	v_addc_co_u32_e32 v1, vcc, 0, v3, vcc
	s_waitcnt lgkmcnt(0)
	global_store_dwordx2 v[0:1], v[4:5], off offset:2048
.LBB3_69:
	s_endpgm
.LBB3_70:
	v_mov_b32_e32 v11, 0
	s_waitcnt vmcnt(2)
	v_subrev_u32_e32 v4, s15, v0
	v_mov_b32_e32 v5, v11
	v_lshl_add_u64 v[2:3], s[0:1], 0, v[10:11]
	v_lshl_add_u64 v[4:5], v[4:5], 3, s[4:5]
	v_cmp_gt_u32_e32 vcc, s15, v0
	s_nop 1
	v_cndmask_b32_e32 v3, v5, v3, vcc
	v_cndmask_b32_e32 v2, v4, v2, vcc
	global_load_dwordx2 v[2:3], v[2:3], off
	s_or_b64 exec, exec, s[2:3]
	v_cmp_gt_u32_e32 vcc, s13, v14
	s_and_saveexec_b64 s[2:3], vcc
	s_cbranch_execz .LBB3_6
.LBB3_71:
	v_mov_b32_e32 v15, 0
	s_waitcnt vmcnt(2)
	v_lshl_add_u64 v[4:5], v[14:15], 3, s[0:1]
	v_cmp_gt_u32_e32 vcc, s15, v14
	v_subrev_u32_e32 v14, s15, v14
	v_lshl_add_u64 v[14:15], v[14:15], 3, s[4:5]
	v_cndmask_b32_e32 v5, v15, v5, vcc
	v_cndmask_b32_e32 v4, v14, v4, vcc
	global_load_dwordx2 v[4:5], v[4:5], off
	s_or_b64 exec, exec, s[2:3]
	v_cmp_gt_u32_e32 vcc, s13, v12
	s_and_saveexec_b64 s[2:3], vcc
	s_cbranch_execnz .LBB3_7
	s_branch .LBB3_8
.LBB3_72:
	v_subrev_u32_e32 v16, s15, v0
	v_cmp_gt_u32_e32 vcc, s28, v16
                                        ; implicit-def: $vgpr14_vgpr15
	s_and_saveexec_b64 s[26:27], vcc
	s_xor_b64 s[26:27], exec, s[26:27]
; %bb.73:
	v_mov_b32_e32 v17, 0
	s_mov_b64 s[24:25], exec
	v_lshl_add_u64 v[14:15], s[22:23], 0, v[16:17]
; %bb.74:
	s_or_b64 exec, exec, s[26:27]
	s_and_b64 s[24:25], s[24:25], exec
	s_andn2_saveexec_b64 s[2:3], s[2:3]
	s_cbranch_execz .LBB3_26
.LBB3_75:
	s_or_b64 s[24:25], s[24:25], exec
	v_mov_b64_e32 v[14:15], v[12:13]
	s_or_b64 exec, exec, s[2:3]
	s_and_saveexec_b64 s[2:3], s[24:25]
	s_cbranch_execnz .LBB3_27
	s_branch .LBB3_28
.LBB3_76:
	ds_read_b64 v[14:15], v13
	s_waitcnt lgkmcnt(0)
	global_store_dwordx2 v[2:3], v[14:15], off
	s_or_b64 exec, exec, s[0:1]
	v_cmp_gt_u32_e32 vcc, s2, v12
	s_and_saveexec_b64 s[0:1], vcc
	s_cbranch_execz .LBB3_64
.LBB3_77:
	s_waitcnt lgkmcnt(2)
	global_store_dwordx2 v[2:3], v[8:9], off offset:2048
	s_or_b64 exec, exec, s[0:1]
	v_cmp_gt_u32_e32 vcc, s2, v11
	s_and_saveexec_b64 s[0:1], vcc
	s_cbranch_execnz .LBB3_65
	s_branch .LBB3_66
	.section	.rodata,"a",@progbits
	.p2align	6, 0x0
	.amdhsa_kernel _ZN7rocprim17ROCPRIM_304000_NS6detail35device_block_merge_mergepath_kernelINS1_37wrapped_merge_sort_block_merge_configINS0_14default_configElN2at4cuda3cub6detail10OpaqueTypeILi1EEEEEPlSC_PSA_SD_jNS1_19radix_merge_compareILb1ELb0ElNS0_19identity_decomposerEEEEEvT0_T1_T2_T3_T4_SL_jT5_PKSL_NS1_7vsmem_tE
		.amdhsa_group_segment_fixed_size 8448
		.amdhsa_private_segment_fixed_size 0
		.amdhsa_kernarg_size 320
		.amdhsa_user_sgpr_count 2
		.amdhsa_user_sgpr_dispatch_ptr 0
		.amdhsa_user_sgpr_queue_ptr 0
		.amdhsa_user_sgpr_kernarg_segment_ptr 1
		.amdhsa_user_sgpr_dispatch_id 0
		.amdhsa_user_sgpr_kernarg_preload_length 0
		.amdhsa_user_sgpr_kernarg_preload_offset 0
		.amdhsa_user_sgpr_private_segment_size 0
		.amdhsa_uses_dynamic_stack 0
		.amdhsa_enable_private_segment 0
		.amdhsa_system_sgpr_workgroup_id_x 1
		.amdhsa_system_sgpr_workgroup_id_y 1
		.amdhsa_system_sgpr_workgroup_id_z 1
		.amdhsa_system_sgpr_workgroup_info 0
		.amdhsa_system_vgpr_workitem_id 0
		.amdhsa_next_free_vgpr 27
		.amdhsa_next_free_sgpr 32
		.amdhsa_accum_offset 28
		.amdhsa_reserve_vcc 1
		.amdhsa_float_round_mode_32 0
		.amdhsa_float_round_mode_16_64 0
		.amdhsa_float_denorm_mode_32 3
		.amdhsa_float_denorm_mode_16_64 3
		.amdhsa_dx10_clamp 1
		.amdhsa_ieee_mode 1
		.amdhsa_fp16_overflow 0
		.amdhsa_tg_split 0
		.amdhsa_exception_fp_ieee_invalid_op 0
		.amdhsa_exception_fp_denorm_src 0
		.amdhsa_exception_fp_ieee_div_zero 0
		.amdhsa_exception_fp_ieee_overflow 0
		.amdhsa_exception_fp_ieee_underflow 0
		.amdhsa_exception_fp_ieee_inexact 0
		.amdhsa_exception_int_div_zero 0
	.end_amdhsa_kernel
	.section	.text._ZN7rocprim17ROCPRIM_304000_NS6detail35device_block_merge_mergepath_kernelINS1_37wrapped_merge_sort_block_merge_configINS0_14default_configElN2at4cuda3cub6detail10OpaqueTypeILi1EEEEEPlSC_PSA_SD_jNS1_19radix_merge_compareILb1ELb0ElNS0_19identity_decomposerEEEEEvT0_T1_T2_T3_T4_SL_jT5_PKSL_NS1_7vsmem_tE,"axG",@progbits,_ZN7rocprim17ROCPRIM_304000_NS6detail35device_block_merge_mergepath_kernelINS1_37wrapped_merge_sort_block_merge_configINS0_14default_configElN2at4cuda3cub6detail10OpaqueTypeILi1EEEEEPlSC_PSA_SD_jNS1_19radix_merge_compareILb1ELb0ElNS0_19identity_decomposerEEEEEvT0_T1_T2_T3_T4_SL_jT5_PKSL_NS1_7vsmem_tE,comdat
.Lfunc_end3:
	.size	_ZN7rocprim17ROCPRIM_304000_NS6detail35device_block_merge_mergepath_kernelINS1_37wrapped_merge_sort_block_merge_configINS0_14default_configElN2at4cuda3cub6detail10OpaqueTypeILi1EEEEEPlSC_PSA_SD_jNS1_19radix_merge_compareILb1ELb0ElNS0_19identity_decomposerEEEEEvT0_T1_T2_T3_T4_SL_jT5_PKSL_NS1_7vsmem_tE, .Lfunc_end3-_ZN7rocprim17ROCPRIM_304000_NS6detail35device_block_merge_mergepath_kernelINS1_37wrapped_merge_sort_block_merge_configINS0_14default_configElN2at4cuda3cub6detail10OpaqueTypeILi1EEEEEPlSC_PSA_SD_jNS1_19radix_merge_compareILb1ELb0ElNS0_19identity_decomposerEEEEEvT0_T1_T2_T3_T4_SL_jT5_PKSL_NS1_7vsmem_tE
                                        ; -- End function
	.section	.AMDGPU.csdata,"",@progbits
; Kernel info:
; codeLenInByte = 3100
; NumSgprs: 38
; NumVgprs: 27
; NumAgprs: 0
; TotalNumVgprs: 27
; ScratchSize: 0
; MemoryBound: 0
; FloatMode: 240
; IeeeMode: 1
; LDSByteSize: 8448 bytes/workgroup (compile time only)
; SGPRBlocks: 4
; VGPRBlocks: 3
; NumSGPRsForWavesPerEU: 38
; NumVGPRsForWavesPerEU: 27
; AccumOffset: 28
; Occupancy: 7
; WaveLimiterHint : 1
; COMPUTE_PGM_RSRC2:SCRATCH_EN: 0
; COMPUTE_PGM_RSRC2:USER_SGPR: 2
; COMPUTE_PGM_RSRC2:TRAP_HANDLER: 0
; COMPUTE_PGM_RSRC2:TGID_X_EN: 1
; COMPUTE_PGM_RSRC2:TGID_Y_EN: 1
; COMPUTE_PGM_RSRC2:TGID_Z_EN: 1
; COMPUTE_PGM_RSRC2:TIDIG_COMP_CNT: 0
; COMPUTE_PGM_RSRC3_GFX90A:ACCUM_OFFSET: 6
; COMPUTE_PGM_RSRC3_GFX90A:TG_SPLIT: 0
	.section	.text._ZN7rocprim17ROCPRIM_304000_NS6detail33device_block_merge_oddeven_kernelINS1_37wrapped_merge_sort_block_merge_configINS0_14default_configElN2at4cuda3cub6detail10OpaqueTypeILi1EEEEEPlSC_PSA_SD_jNS1_19radix_merge_compareILb1ELb0ElNS0_19identity_decomposerEEEEEvT0_T1_T2_T3_T4_SL_T5_,"axG",@progbits,_ZN7rocprim17ROCPRIM_304000_NS6detail33device_block_merge_oddeven_kernelINS1_37wrapped_merge_sort_block_merge_configINS0_14default_configElN2at4cuda3cub6detail10OpaqueTypeILi1EEEEEPlSC_PSA_SD_jNS1_19radix_merge_compareILb1ELb0ElNS0_19identity_decomposerEEEEEvT0_T1_T2_T3_T4_SL_T5_,comdat
	.protected	_ZN7rocprim17ROCPRIM_304000_NS6detail33device_block_merge_oddeven_kernelINS1_37wrapped_merge_sort_block_merge_configINS0_14default_configElN2at4cuda3cub6detail10OpaqueTypeILi1EEEEEPlSC_PSA_SD_jNS1_19radix_merge_compareILb1ELb0ElNS0_19identity_decomposerEEEEEvT0_T1_T2_T3_T4_SL_T5_ ; -- Begin function _ZN7rocprim17ROCPRIM_304000_NS6detail33device_block_merge_oddeven_kernelINS1_37wrapped_merge_sort_block_merge_configINS0_14default_configElN2at4cuda3cub6detail10OpaqueTypeILi1EEEEEPlSC_PSA_SD_jNS1_19radix_merge_compareILb1ELb0ElNS0_19identity_decomposerEEEEEvT0_T1_T2_T3_T4_SL_T5_
	.globl	_ZN7rocprim17ROCPRIM_304000_NS6detail33device_block_merge_oddeven_kernelINS1_37wrapped_merge_sort_block_merge_configINS0_14default_configElN2at4cuda3cub6detail10OpaqueTypeILi1EEEEEPlSC_PSA_SD_jNS1_19radix_merge_compareILb1ELb0ElNS0_19identity_decomposerEEEEEvT0_T1_T2_T3_T4_SL_T5_
	.p2align	8
	.type	_ZN7rocprim17ROCPRIM_304000_NS6detail33device_block_merge_oddeven_kernelINS1_37wrapped_merge_sort_block_merge_configINS0_14default_configElN2at4cuda3cub6detail10OpaqueTypeILi1EEEEEPlSC_PSA_SD_jNS1_19radix_merge_compareILb1ELb0ElNS0_19identity_decomposerEEEEEvT0_T1_T2_T3_T4_SL_T5_,@function
_ZN7rocprim17ROCPRIM_304000_NS6detail33device_block_merge_oddeven_kernelINS1_37wrapped_merge_sort_block_merge_configINS0_14default_configElN2at4cuda3cub6detail10OpaqueTypeILi1EEEEEPlSC_PSA_SD_jNS1_19radix_merge_compareILb1ELb0ElNS0_19identity_decomposerEEEEEvT0_T1_T2_T3_T4_SL_T5_: ; @_ZN7rocprim17ROCPRIM_304000_NS6detail33device_block_merge_oddeven_kernelINS1_37wrapped_merge_sort_block_merge_configINS0_14default_configElN2at4cuda3cub6detail10OpaqueTypeILi1EEEEEPlSC_PSA_SD_jNS1_19radix_merge_compareILb1ELb0ElNS0_19identity_decomposerEEEEEvT0_T1_T2_T3_T4_SL_T5_
; %bb.0:
	s_load_dwordx2 s[6:7], s[0:1], 0x20
	s_waitcnt lgkmcnt(0)
	s_lshr_b32 s3, s6, 8
	s_cmp_lg_u32 s2, s3
	s_cselect_b64 s[8:9], -1, 0
	s_cmp_eq_u32 s2, s3
	s_cselect_b64 s[16:17], -1, 0
	s_lshl_b32 s18, s2, 8
	s_sub_i32 s3, s6, s18
	v_cmp_gt_u32_e64 s[4:5], s3, v0
	s_or_b64 s[8:9], s[8:9], s[4:5]
	s_and_saveexec_b64 s[10:11], s[8:9]
	s_cbranch_execz .LBB4_26
; %bb.1:
	s_load_dwordx8 s[8:15], s[0:1], 0x0
	s_mov_b32 s19, 0
	s_lshl_b64 s[0:1], s[18:19], 3
	v_lshlrev_b32_e32 v1, 3, v0
	v_add_u32_e32 v4, s18, v0
	s_waitcnt lgkmcnt(0)
	s_add_u32 s0, s8, s0
	s_addc_u32 s1, s9, s1
	s_add_u32 s12, s12, s18
	s_addc_u32 s13, s13, 0
	global_load_ubyte v6, v0, s[12:13]
	global_load_dwordx2 v[2:3], v1, s[0:1]
	s_lshr_b32 s0, s7, 8
	s_sub_i32 s1, 0, s0
	s_and_b32 s1, s2, s1
	s_and_b32 s0, s1, s0
	s_lshl_b32 s21, s1, 8
	s_sub_i32 s12, 0, s7
	s_cmp_eq_u32 s0, 0
	s_cselect_b64 s[0:1], -1, 0
	s_and_b64 s[2:3], s[0:1], exec
	s_cselect_b32 s20, s7, s12
	s_add_i32 s20, s20, s21
	s_cmp_lt_u32 s20, s6
	s_cbranch_scc1 .LBB4_6
; %bb.2:
	s_and_b64 vcc, exec, s[16:17]
	s_cbranch_vccz .LBB4_7
; %bb.3:
	v_cmp_gt_u32_e32 vcc, s6, v4
	s_mov_b64 s[12:13], 0
	s_mov_b64 s[2:3], 0
                                        ; implicit-def: $vgpr0_vgpr1
	s_and_saveexec_b64 s[18:19], vcc
	s_cbranch_execz .LBB4_5
; %bb.4:
	v_mov_b32_e32 v5, 0
	s_mov_b64 s[2:3], exec
	v_lshl_add_u64 v[0:1], s[14:15], 0, v[4:5]
	v_lshl_add_u64 v[8:9], v[4:5], 3, s[10:11]
	s_waitcnt vmcnt(0)
	global_store_dwordx2 v[8:9], v[2:3], off
.LBB4_5:
	s_or_b64 exec, exec, s[18:19]
	s_and_b64 vcc, exec, s[12:13]
	s_cbranch_vccnz .LBB4_8
	s_branch .LBB4_9
.LBB4_6:
	s_mov_b64 s[2:3], 0
                                        ; implicit-def: $vgpr0_vgpr1
	s_cbranch_execnz .LBB4_10
	s_branch .LBB4_24
.LBB4_7:
	s_mov_b64 s[2:3], 0
                                        ; implicit-def: $vgpr0_vgpr1
	s_cbranch_execz .LBB4_9
.LBB4_8:
	v_mov_b32_e32 v5, 0
	v_lshl_add_u64 v[0:1], v[4:5], 3, s[10:11]
	s_waitcnt vmcnt(0)
	global_store_dwordx2 v[0:1], v[2:3], off
	v_lshl_add_u64 v[0:1], s[14:15], 0, v[4:5]
	s_or_b64 s[2:3], s[2:3], exec
.LBB4_9:
	s_branch .LBB4_24
.LBB4_10:
	s_min_u32 s12, s20, s6
	s_add_i32 s7, s12, s7
	s_min_u32 s13, s7, s6
	s_min_u32 s6, s21, s12
	s_add_i32 s21, s21, s12
	v_subrev_u32_e32 v0, s21, v4
	v_add_u32_e32 v4, s6, v0
	s_and_b64 vcc, exec, s[16:17]
	s_cbranch_vccz .LBB4_18
; %bb.11:
                                        ; implicit-def: $vgpr0_vgpr1
	s_and_saveexec_b64 s[6:7], s[4:5]
	s_cbranch_execz .LBB4_17
; %bb.12:
	s_cmp_ge_u32 s20, s13
	v_mov_b32_e32 v5, s12
	s_cbranch_scc1 .LBB4_16
; %bb.13:
	s_mov_b64 s[4:5], 0
	v_mov_b32_e32 v7, s13
	v_mov_b32_e32 v5, s12
	;; [unrolled: 1-line block ×3, first 2 shown]
.LBB4_14:                               ; =>This Inner Loop Header: Depth=1
	v_add_u32_e32 v0, v5, v7
	v_lshrrev_b32_e32 v0, 1, v0
	v_lshl_add_u64 v[8:9], v[0:1], 3, s[8:9]
	global_load_dwordx2 v[8:9], v[8:9], off
	v_add_u32_e32 v10, 1, v0
	s_waitcnt vmcnt(0)
	v_cmp_gt_i64_e32 vcc, v[8:9], v[2:3]
	s_nop 1
	v_cndmask_b32_e64 v11, 0, 1, vcc
	v_cmp_le_i64_e32 vcc, v[2:3], v[8:9]
	s_nop 1
	v_cndmask_b32_e64 v8, 0, 1, vcc
	v_cndmask_b32_e64 v8, v8, v11, s[0:1]
	v_and_b32_e32 v8, 1, v8
	v_cmp_eq_u32_e32 vcc, 1, v8
	s_nop 1
	v_cndmask_b32_e32 v7, v0, v7, vcc
	v_cndmask_b32_e32 v5, v5, v10, vcc
	v_cmp_ge_u32_e32 vcc, v5, v7
	s_or_b64 s[4:5], vcc, s[4:5]
	s_andn2_b64 exec, exec, s[4:5]
	s_cbranch_execnz .LBB4_14
; %bb.15:
	s_or_b64 exec, exec, s[4:5]
.LBB4_16:
	v_add_u32_e32 v0, v5, v4
	v_mov_b32_e32 v1, 0
	v_lshl_add_u64 v[8:9], v[0:1], 3, s[10:11]
	s_waitcnt vmcnt(0)
	global_store_dwordx2 v[8:9], v[2:3], off
	v_lshl_add_u64 v[0:1], s[14:15], 0, v[0:1]
	s_or_b64 s[2:3], s[2:3], exec
.LBB4_17:
	s_or_b64 exec, exec, s[6:7]
	s_branch .LBB4_24
.LBB4_18:
                                        ; implicit-def: $vgpr0_vgpr1
	s_cbranch_execz .LBB4_24
; %bb.19:
	s_cmp_ge_u32 s20, s13
	v_mov_b32_e32 v5, s12
	s_cbranch_scc1 .LBB4_23
; %bb.20:
	s_mov_b64 s[2:3], 0
	v_mov_b32_e32 v7, s13
	v_mov_b32_e32 v5, s12
	;; [unrolled: 1-line block ×3, first 2 shown]
.LBB4_21:                               ; =>This Inner Loop Header: Depth=1
	v_add_u32_e32 v0, v5, v7
	v_lshrrev_b32_e32 v0, 1, v0
	v_lshl_add_u64 v[8:9], v[0:1], 3, s[8:9]
	global_load_dwordx2 v[8:9], v[8:9], off
	v_add_u32_e32 v10, 1, v0
	s_waitcnt vmcnt(0)
	v_cmp_gt_i64_e32 vcc, v[8:9], v[2:3]
	s_nop 1
	v_cndmask_b32_e64 v11, 0, 1, vcc
	v_cmp_le_i64_e32 vcc, v[2:3], v[8:9]
	s_nop 1
	v_cndmask_b32_e64 v8, 0, 1, vcc
	v_cndmask_b32_e64 v8, v8, v11, s[0:1]
	v_and_b32_e32 v8, 1, v8
	v_cmp_eq_u32_e32 vcc, 1, v8
	s_nop 1
	v_cndmask_b32_e32 v7, v0, v7, vcc
	v_cndmask_b32_e32 v5, v5, v10, vcc
	v_cmp_ge_u32_e32 vcc, v5, v7
	s_or_b64 s[2:3], vcc, s[2:3]
	s_andn2_b64 exec, exec, s[2:3]
	s_cbranch_execnz .LBB4_21
; %bb.22:
	s_or_b64 exec, exec, s[2:3]
.LBB4_23:
	v_add_u32_e32 v0, v5, v4
	v_mov_b32_e32 v1, 0
	v_lshl_add_u64 v[4:5], v[0:1], 3, s[10:11]
	v_lshl_add_u64 v[0:1], s[14:15], 0, v[0:1]
	s_mov_b64 s[2:3], -1
	s_waitcnt vmcnt(0)
	global_store_dwordx2 v[4:5], v[2:3], off
.LBB4_24:
	s_and_b64 exec, exec, s[2:3]
	s_cbranch_execz .LBB4_26
; %bb.25:
	s_waitcnt vmcnt(1)
	global_store_byte v[0:1], v6, off
.LBB4_26:
	s_endpgm
	.section	.rodata,"a",@progbits
	.p2align	6, 0x0
	.amdhsa_kernel _ZN7rocprim17ROCPRIM_304000_NS6detail33device_block_merge_oddeven_kernelINS1_37wrapped_merge_sort_block_merge_configINS0_14default_configElN2at4cuda3cub6detail10OpaqueTypeILi1EEEEEPlSC_PSA_SD_jNS1_19radix_merge_compareILb1ELb0ElNS0_19identity_decomposerEEEEEvT0_T1_T2_T3_T4_SL_T5_
		.amdhsa_group_segment_fixed_size 0
		.amdhsa_private_segment_fixed_size 0
		.amdhsa_kernarg_size 44
		.amdhsa_user_sgpr_count 2
		.amdhsa_user_sgpr_dispatch_ptr 0
		.amdhsa_user_sgpr_queue_ptr 0
		.amdhsa_user_sgpr_kernarg_segment_ptr 1
		.amdhsa_user_sgpr_dispatch_id 0
		.amdhsa_user_sgpr_kernarg_preload_length 0
		.amdhsa_user_sgpr_kernarg_preload_offset 0
		.amdhsa_user_sgpr_private_segment_size 0
		.amdhsa_uses_dynamic_stack 0
		.amdhsa_enable_private_segment 0
		.amdhsa_system_sgpr_workgroup_id_x 1
		.amdhsa_system_sgpr_workgroup_id_y 0
		.amdhsa_system_sgpr_workgroup_id_z 0
		.amdhsa_system_sgpr_workgroup_info 0
		.amdhsa_system_vgpr_workitem_id 0
		.amdhsa_next_free_vgpr 12
		.amdhsa_next_free_sgpr 22
		.amdhsa_accum_offset 12
		.amdhsa_reserve_vcc 1
		.amdhsa_float_round_mode_32 0
		.amdhsa_float_round_mode_16_64 0
		.amdhsa_float_denorm_mode_32 3
		.amdhsa_float_denorm_mode_16_64 3
		.amdhsa_dx10_clamp 1
		.amdhsa_ieee_mode 1
		.amdhsa_fp16_overflow 0
		.amdhsa_tg_split 0
		.amdhsa_exception_fp_ieee_invalid_op 0
		.amdhsa_exception_fp_denorm_src 0
		.amdhsa_exception_fp_ieee_div_zero 0
		.amdhsa_exception_fp_ieee_overflow 0
		.amdhsa_exception_fp_ieee_underflow 0
		.amdhsa_exception_fp_ieee_inexact 0
		.amdhsa_exception_int_div_zero 0
	.end_amdhsa_kernel
	.section	.text._ZN7rocprim17ROCPRIM_304000_NS6detail33device_block_merge_oddeven_kernelINS1_37wrapped_merge_sort_block_merge_configINS0_14default_configElN2at4cuda3cub6detail10OpaqueTypeILi1EEEEEPlSC_PSA_SD_jNS1_19radix_merge_compareILb1ELb0ElNS0_19identity_decomposerEEEEEvT0_T1_T2_T3_T4_SL_T5_,"axG",@progbits,_ZN7rocprim17ROCPRIM_304000_NS6detail33device_block_merge_oddeven_kernelINS1_37wrapped_merge_sort_block_merge_configINS0_14default_configElN2at4cuda3cub6detail10OpaqueTypeILi1EEEEEPlSC_PSA_SD_jNS1_19radix_merge_compareILb1ELb0ElNS0_19identity_decomposerEEEEEvT0_T1_T2_T3_T4_SL_T5_,comdat
.Lfunc_end4:
	.size	_ZN7rocprim17ROCPRIM_304000_NS6detail33device_block_merge_oddeven_kernelINS1_37wrapped_merge_sort_block_merge_configINS0_14default_configElN2at4cuda3cub6detail10OpaqueTypeILi1EEEEEPlSC_PSA_SD_jNS1_19radix_merge_compareILb1ELb0ElNS0_19identity_decomposerEEEEEvT0_T1_T2_T3_T4_SL_T5_, .Lfunc_end4-_ZN7rocprim17ROCPRIM_304000_NS6detail33device_block_merge_oddeven_kernelINS1_37wrapped_merge_sort_block_merge_configINS0_14default_configElN2at4cuda3cub6detail10OpaqueTypeILi1EEEEEPlSC_PSA_SD_jNS1_19radix_merge_compareILb1ELb0ElNS0_19identity_decomposerEEEEEvT0_T1_T2_T3_T4_SL_T5_
                                        ; -- End function
	.section	.AMDGPU.csdata,"",@progbits
; Kernel info:
; codeLenInByte = 752
; NumSgprs: 28
; NumVgprs: 12
; NumAgprs: 0
; TotalNumVgprs: 12
; ScratchSize: 0
; MemoryBound: 0
; FloatMode: 240
; IeeeMode: 1
; LDSByteSize: 0 bytes/workgroup (compile time only)
; SGPRBlocks: 3
; VGPRBlocks: 1
; NumSGPRsForWavesPerEU: 28
; NumVGPRsForWavesPerEU: 12
; AccumOffset: 12
; Occupancy: 8
; WaveLimiterHint : 0
; COMPUTE_PGM_RSRC2:SCRATCH_EN: 0
; COMPUTE_PGM_RSRC2:USER_SGPR: 2
; COMPUTE_PGM_RSRC2:TRAP_HANDLER: 0
; COMPUTE_PGM_RSRC2:TGID_X_EN: 1
; COMPUTE_PGM_RSRC2:TGID_Y_EN: 0
; COMPUTE_PGM_RSRC2:TGID_Z_EN: 0
; COMPUTE_PGM_RSRC2:TIDIG_COMP_CNT: 0
; COMPUTE_PGM_RSRC3_GFX90A:ACCUM_OFFSET: 2
; COMPUTE_PGM_RSRC3_GFX90A:TG_SPLIT: 0
	.section	.text._ZN7rocprim17ROCPRIM_304000_NS6detail16transform_kernelINS1_24wrapped_transform_configINS0_14default_configElEElPlS6_NS0_8identityIlEEEEvT1_mT2_T3_,"axG",@progbits,_ZN7rocprim17ROCPRIM_304000_NS6detail16transform_kernelINS1_24wrapped_transform_configINS0_14default_configElEElPlS6_NS0_8identityIlEEEEvT1_mT2_T3_,comdat
	.protected	_ZN7rocprim17ROCPRIM_304000_NS6detail16transform_kernelINS1_24wrapped_transform_configINS0_14default_configElEElPlS6_NS0_8identityIlEEEEvT1_mT2_T3_ ; -- Begin function _ZN7rocprim17ROCPRIM_304000_NS6detail16transform_kernelINS1_24wrapped_transform_configINS0_14default_configElEElPlS6_NS0_8identityIlEEEEvT1_mT2_T3_
	.globl	_ZN7rocprim17ROCPRIM_304000_NS6detail16transform_kernelINS1_24wrapped_transform_configINS0_14default_configElEElPlS6_NS0_8identityIlEEEEvT1_mT2_T3_
	.p2align	8
	.type	_ZN7rocprim17ROCPRIM_304000_NS6detail16transform_kernelINS1_24wrapped_transform_configINS0_14default_configElEElPlS6_NS0_8identityIlEEEEvT1_mT2_T3_,@function
_ZN7rocprim17ROCPRIM_304000_NS6detail16transform_kernelINS1_24wrapped_transform_configINS0_14default_configElEElPlS6_NS0_8identityIlEEEEvT1_mT2_T3_: ; @_ZN7rocprim17ROCPRIM_304000_NS6detail16transform_kernelINS1_24wrapped_transform_configINS0_14default_configElEElPlS6_NS0_8identityIlEEEEvT1_mT2_T3_
; %bb.0:
	s_load_dword s3, s[0:1], 0x20
	s_load_dwordx4 s[4:7], s[0:1], 0x0
	s_load_dwordx2 s[8:9], s[0:1], 0x10
	s_lshl_b32 s0, s2, 9
	s_mov_b32 s1, 0
	s_waitcnt lgkmcnt(0)
	s_add_i32 s3, s3, -1
	s_lshl_b64 s[10:11], s[0:1], 3
	s_add_u32 s4, s4, s10
	s_addc_u32 s5, s5, s11
	v_mov_b32_e32 v7, 0
	v_lshlrev_b32_e32 v6, 3, v0
	s_cmp_lg_u32 s2, s3
	v_lshl_add_u64 v[8:9], s[4:5], 0, v[6:7]
	s_cbranch_scc0 .LBB5_2
; %bb.1:
	global_load_dwordx2 v[2:3], v[8:9], off
	global_load_dwordx2 v[4:5], v[8:9], off offset:2048
	s_add_u32 s2, s8, s10
	s_addc_u32 s3, s9, s11
	s_waitcnt vmcnt(1)
	global_store_dwordx2 v6, v[2:3], s[2:3]
	s_mov_b64 s[2:3], -1
	s_cbranch_execz .LBB5_3
	s_branch .LBB5_10
.LBB5_2:
	s_mov_b64 s[2:3], 0
                                        ; implicit-def: $vgpr4_vgpr5
.LBB5_3:
	s_sub_i32 s4, s6, s0
	v_cmp_gt_u32_e32 vcc, s4, v0
                                        ; implicit-def: $vgpr2_vgpr3_vgpr4_vgpr5
	s_and_saveexec_b64 s[0:1], vcc
	s_cbranch_execz .LBB5_5
; %bb.4:
	global_load_dwordx2 v[2:3], v[8:9], off
.LBB5_5:
	s_or_b64 exec, exec, s[0:1]
	v_or_b32_e32 v0, 0x100, v0
	v_cmp_gt_u32_e64 s[0:1], s4, v0
	s_and_saveexec_b64 s[4:5], s[0:1]
	s_cbranch_execnz .LBB5_13
; %bb.6:
	s_or_b64 exec, exec, s[4:5]
	s_and_saveexec_b64 s[4:5], vcc
	s_cbranch_execnz .LBB5_14
.LBB5_7:
	s_or_b64 exec, exec, s[4:5]
	s_and_saveexec_b64 s[4:5], s[0:1]
.LBB5_8:
	s_or_b64 s[2:3], s[2:3], exec
.LBB5_9:
	s_or_b64 exec, exec, s[4:5]
.LBB5_10:
	s_and_saveexec_b64 s[0:1], s[2:3]
	s_cbranch_execnz .LBB5_12
; %bb.11:
	s_endpgm
.LBB5_12:
	s_add_u32 s0, s8, s10
	s_addc_u32 s1, s9, s11
	s_waitcnt vmcnt(0)
	global_store_dwordx2 v6, v[4:5], s[0:1] offset:2048
	s_endpgm
.LBB5_13:
	global_load_dwordx2 v[4:5], v[8:9], off offset:2048
	s_or_b64 exec, exec, s[4:5]
	s_and_saveexec_b64 s[4:5], vcc
	s_cbranch_execz .LBB5_7
.LBB5_14:
	s_add_u32 s6, s8, s10
	s_addc_u32 s7, s9, s11
	s_waitcnt vmcnt(0)
	global_store_dwordx2 v6, v[2:3], s[6:7]
	s_or_b64 exec, exec, s[4:5]
	s_and_saveexec_b64 s[4:5], s[0:1]
	s_cbranch_execnz .LBB5_8
	s_branch .LBB5_9
	.section	.rodata,"a",@progbits
	.p2align	6, 0x0
	.amdhsa_kernel _ZN7rocprim17ROCPRIM_304000_NS6detail16transform_kernelINS1_24wrapped_transform_configINS0_14default_configElEElPlS6_NS0_8identityIlEEEEvT1_mT2_T3_
		.amdhsa_group_segment_fixed_size 0
		.amdhsa_private_segment_fixed_size 0
		.amdhsa_kernarg_size 288
		.amdhsa_user_sgpr_count 2
		.amdhsa_user_sgpr_dispatch_ptr 0
		.amdhsa_user_sgpr_queue_ptr 0
		.amdhsa_user_sgpr_kernarg_segment_ptr 1
		.amdhsa_user_sgpr_dispatch_id 0
		.amdhsa_user_sgpr_kernarg_preload_length 0
		.amdhsa_user_sgpr_kernarg_preload_offset 0
		.amdhsa_user_sgpr_private_segment_size 0
		.amdhsa_uses_dynamic_stack 0
		.amdhsa_enable_private_segment 0
		.amdhsa_system_sgpr_workgroup_id_x 1
		.amdhsa_system_sgpr_workgroup_id_y 0
		.amdhsa_system_sgpr_workgroup_id_z 0
		.amdhsa_system_sgpr_workgroup_info 0
		.amdhsa_system_vgpr_workitem_id 0
		.amdhsa_next_free_vgpr 10
		.amdhsa_next_free_sgpr 12
		.amdhsa_accum_offset 12
		.amdhsa_reserve_vcc 1
		.amdhsa_float_round_mode_32 0
		.amdhsa_float_round_mode_16_64 0
		.amdhsa_float_denorm_mode_32 3
		.amdhsa_float_denorm_mode_16_64 3
		.amdhsa_dx10_clamp 1
		.amdhsa_ieee_mode 1
		.amdhsa_fp16_overflow 0
		.amdhsa_tg_split 0
		.amdhsa_exception_fp_ieee_invalid_op 0
		.amdhsa_exception_fp_denorm_src 0
		.amdhsa_exception_fp_ieee_div_zero 0
		.amdhsa_exception_fp_ieee_overflow 0
		.amdhsa_exception_fp_ieee_underflow 0
		.amdhsa_exception_fp_ieee_inexact 0
		.amdhsa_exception_int_div_zero 0
	.end_amdhsa_kernel
	.section	.text._ZN7rocprim17ROCPRIM_304000_NS6detail16transform_kernelINS1_24wrapped_transform_configINS0_14default_configElEElPlS6_NS0_8identityIlEEEEvT1_mT2_T3_,"axG",@progbits,_ZN7rocprim17ROCPRIM_304000_NS6detail16transform_kernelINS1_24wrapped_transform_configINS0_14default_configElEElPlS6_NS0_8identityIlEEEEvT1_mT2_T3_,comdat
.Lfunc_end5:
	.size	_ZN7rocprim17ROCPRIM_304000_NS6detail16transform_kernelINS1_24wrapped_transform_configINS0_14default_configElEElPlS6_NS0_8identityIlEEEEvT1_mT2_T3_, .Lfunc_end5-_ZN7rocprim17ROCPRIM_304000_NS6detail16transform_kernelINS1_24wrapped_transform_configINS0_14default_configElEElPlS6_NS0_8identityIlEEEEvT1_mT2_T3_
                                        ; -- End function
	.section	.AMDGPU.csdata,"",@progbits
; Kernel info:
; codeLenInByte = 300
; NumSgprs: 18
; NumVgprs: 10
; NumAgprs: 0
; TotalNumVgprs: 10
; ScratchSize: 0
; MemoryBound: 1
; FloatMode: 240
; IeeeMode: 1
; LDSByteSize: 0 bytes/workgroup (compile time only)
; SGPRBlocks: 2
; VGPRBlocks: 1
; NumSGPRsForWavesPerEU: 18
; NumVGPRsForWavesPerEU: 10
; AccumOffset: 12
; Occupancy: 8
; WaveLimiterHint : 1
; COMPUTE_PGM_RSRC2:SCRATCH_EN: 0
; COMPUTE_PGM_RSRC2:USER_SGPR: 2
; COMPUTE_PGM_RSRC2:TRAP_HANDLER: 0
; COMPUTE_PGM_RSRC2:TGID_X_EN: 1
; COMPUTE_PGM_RSRC2:TGID_Y_EN: 0
; COMPUTE_PGM_RSRC2:TGID_Z_EN: 0
; COMPUTE_PGM_RSRC2:TIDIG_COMP_CNT: 0
; COMPUTE_PGM_RSRC3_GFX90A:ACCUM_OFFSET: 2
; COMPUTE_PGM_RSRC3_GFX90A:TG_SPLIT: 0
	.section	.text._ZN7rocprim17ROCPRIM_304000_NS6detail16transform_kernelINS1_24wrapped_transform_configINS0_14default_configEN2at4cuda3cub6detail10OpaqueTypeILi1EEEEESA_PSA_SC_NS0_8identityISA_EEEEvT1_mT2_T3_,"axG",@progbits,_ZN7rocprim17ROCPRIM_304000_NS6detail16transform_kernelINS1_24wrapped_transform_configINS0_14default_configEN2at4cuda3cub6detail10OpaqueTypeILi1EEEEESA_PSA_SC_NS0_8identityISA_EEEEvT1_mT2_T3_,comdat
	.protected	_ZN7rocprim17ROCPRIM_304000_NS6detail16transform_kernelINS1_24wrapped_transform_configINS0_14default_configEN2at4cuda3cub6detail10OpaqueTypeILi1EEEEESA_PSA_SC_NS0_8identityISA_EEEEvT1_mT2_T3_ ; -- Begin function _ZN7rocprim17ROCPRIM_304000_NS6detail16transform_kernelINS1_24wrapped_transform_configINS0_14default_configEN2at4cuda3cub6detail10OpaqueTypeILi1EEEEESA_PSA_SC_NS0_8identityISA_EEEEvT1_mT2_T3_
	.globl	_ZN7rocprim17ROCPRIM_304000_NS6detail16transform_kernelINS1_24wrapped_transform_configINS0_14default_configEN2at4cuda3cub6detail10OpaqueTypeILi1EEEEESA_PSA_SC_NS0_8identityISA_EEEEvT1_mT2_T3_
	.p2align	8
	.type	_ZN7rocprim17ROCPRIM_304000_NS6detail16transform_kernelINS1_24wrapped_transform_configINS0_14default_configEN2at4cuda3cub6detail10OpaqueTypeILi1EEEEESA_PSA_SC_NS0_8identityISA_EEEEvT1_mT2_T3_,@function
_ZN7rocprim17ROCPRIM_304000_NS6detail16transform_kernelINS1_24wrapped_transform_configINS0_14default_configEN2at4cuda3cub6detail10OpaqueTypeILi1EEEEESA_PSA_SC_NS0_8identityISA_EEEEvT1_mT2_T3_: ; @_ZN7rocprim17ROCPRIM_304000_NS6detail16transform_kernelINS1_24wrapped_transform_configINS0_14default_configEN2at4cuda3cub6detail10OpaqueTypeILi1EEEEESA_PSA_SC_NS0_8identityISA_EEEEvT1_mT2_T3_
; %bb.0:
	s_load_dword s3, s[0:1], 0x20
	s_load_dwordx4 s[4:7], s[0:1], 0x0
	s_load_dwordx2 s[28:29], s[0:1], 0x10
	s_lshl_b32 s33, s2, 12
	v_mov_b32_e32 v1, 0
	s_waitcnt lgkmcnt(0)
	s_add_i32 s3, s3, -1
	s_add_u32 s0, s4, s33
	s_addc_u32 s1, s5, 0
	s_cmp_lg_u32 s2, s3
	v_lshl_add_u64 v[2:3], s[0:1], 0, v[0:1]
	s_cbranch_scc0 .LBB6_2
; %bb.1:
	global_load_ubyte v7, v[2:3], off
	global_load_ubyte v8, v[2:3], off offset:256
	global_load_ubyte v9, v[2:3], off offset:512
	global_load_ubyte v10, v[2:3], off offset:768
	global_load_ubyte v11, v[2:3], off offset:1024
	global_load_ubyte v12, v[2:3], off offset:1280
	global_load_ubyte v13, v[2:3], off offset:1536
	global_load_ubyte v14, v[2:3], off offset:1792
	global_load_ubyte v15, v[2:3], off offset:2048
	global_load_ubyte v16, v[2:3], off offset:2304
	global_load_ubyte v17, v[2:3], off offset:2560
	global_load_ubyte v18, v[2:3], off offset:2816
	global_load_ubyte v19, v[2:3], off offset:3072
	global_load_ubyte v20, v[2:3], off offset:3328
	global_load_ubyte v21, v[2:3], off offset:3584
	global_load_ubyte v6, v[2:3], off offset:3840
	s_add_u32 s2, s28, s33
	s_addc_u32 s3, s29, 0
	v_lshl_add_u64 v[4:5], s[2:3], 0, v[0:1]
	s_mov_b64 s[30:31], -1
	s_waitcnt vmcnt(15)
	global_store_byte v[4:5], v7, off
	s_waitcnt vmcnt(15)
	global_store_byte v[4:5], v8, off offset:256
	s_waitcnt vmcnt(15)
	global_store_byte v[4:5], v9, off offset:512
	;; [unrolled: 2-line block ×14, first 2 shown]
	s_cbranch_execz .LBB6_3
	s_branch .LBB6_52
.LBB6_2:
	s_mov_b64 s[30:31], 0
                                        ; implicit-def: $vgpr6
.LBB6_3:
	s_sub_i32 s34, s6, s33
	v_cmp_gt_u32_e32 vcc, s34, v0
                                        ; implicit-def: $vgpr4
	s_and_saveexec_b64 s[0:1], vcc
	s_cbranch_execz .LBB6_5
; %bb.4:
	global_load_ubyte v4, v[2:3], off
.LBB6_5:
	s_or_b64 exec, exec, s[0:1]
	v_or_b32_e32 v5, 0x100, v0
	v_cmp_gt_u32_e64 s[0:1], s34, v5
                                        ; implicit-def: $vgpr5
	s_and_saveexec_b64 s[2:3], s[0:1]
	s_cbranch_execz .LBB6_7
; %bb.6:
	global_load_ubyte v5, v[2:3], off offset:256
.LBB6_7:
	s_or_b64 exec, exec, s[2:3]
	s_waitcnt vmcnt(15)
	v_or_b32_e32 v6, 0x200, v0
	v_cmp_gt_u32_e64 s[2:3], s34, v6
                                        ; implicit-def: $vgpr7
	s_and_saveexec_b64 s[4:5], s[2:3]
	s_cbranch_execz .LBB6_9
; %bb.8:
	global_load_ubyte v7, v[2:3], off offset:512
.LBB6_9:
	s_or_b64 exec, exec, s[4:5]
	v_or_b32_e32 v6, 0x300, v0
	v_cmp_gt_u32_e64 s[4:5], s34, v6
                                        ; implicit-def: $vgpr8
	s_and_saveexec_b64 s[6:7], s[4:5]
	s_cbranch_execz .LBB6_11
; %bb.10:
	global_load_ubyte v8, v[2:3], off offset:768
.LBB6_11:
	s_or_b64 exec, exec, s[6:7]
	v_or_b32_e32 v6, 0x400, v0
	v_cmp_gt_u32_e64 s[6:7], s34, v6
                                        ; implicit-def: $vgpr9
	s_and_saveexec_b64 s[8:9], s[6:7]
	s_cbranch_execz .LBB6_13
; %bb.12:
	global_load_ubyte v9, v[2:3], off offset:1024
.LBB6_13:
	s_or_b64 exec, exec, s[8:9]
	v_or_b32_e32 v6, 0x500, v0
	v_cmp_gt_u32_e64 s[8:9], s34, v6
                                        ; implicit-def: $vgpr10
	s_and_saveexec_b64 s[10:11], s[8:9]
	s_cbranch_execz .LBB6_15
; %bb.14:
	global_load_ubyte v10, v[2:3], off offset:1280
.LBB6_15:
	s_or_b64 exec, exec, s[10:11]
	v_or_b32_e32 v6, 0x600, v0
	v_cmp_gt_u32_e64 s[10:11], s34, v6
                                        ; implicit-def: $vgpr11
	s_and_saveexec_b64 s[12:13], s[10:11]
	s_cbranch_execz .LBB6_17
; %bb.16:
	global_load_ubyte v11, v[2:3], off offset:1536
.LBB6_17:
	s_or_b64 exec, exec, s[12:13]
	v_or_b32_e32 v6, 0x700, v0
	v_cmp_gt_u32_e64 s[12:13], s34, v6
                                        ; implicit-def: $vgpr12
	s_and_saveexec_b64 s[14:15], s[12:13]
	s_cbranch_execz .LBB6_19
; %bb.18:
	global_load_ubyte v12, v[2:3], off offset:1792
.LBB6_19:
	s_or_b64 exec, exec, s[14:15]
	v_or_b32_e32 v6, 0x800, v0
	v_cmp_gt_u32_e64 s[14:15], s34, v6
                                        ; implicit-def: $vgpr13
	s_and_saveexec_b64 s[16:17], s[14:15]
	s_cbranch_execz .LBB6_21
; %bb.20:
	global_load_ubyte v13, v[2:3], off offset:2048
.LBB6_21:
	s_or_b64 exec, exec, s[16:17]
	v_or_b32_e32 v6, 0x900, v0
	v_cmp_gt_u32_e64 s[16:17], s34, v6
                                        ; implicit-def: $vgpr14
	s_and_saveexec_b64 s[18:19], s[16:17]
	s_cbranch_execz .LBB6_23
; %bb.22:
	global_load_ubyte v14, v[2:3], off offset:2304
.LBB6_23:
	s_or_b64 exec, exec, s[18:19]
	v_or_b32_e32 v6, 0xa00, v0
	v_cmp_gt_u32_e64 s[18:19], s34, v6
                                        ; implicit-def: $vgpr15
	s_and_saveexec_b64 s[20:21], s[18:19]
	s_cbranch_execz .LBB6_25
; %bb.24:
	global_load_ubyte v15, v[2:3], off offset:2560
.LBB6_25:
	s_or_b64 exec, exec, s[20:21]
	v_or_b32_e32 v6, 0xb00, v0
	v_cmp_gt_u32_e64 s[20:21], s34, v6
                                        ; implicit-def: $vgpr16
	s_and_saveexec_b64 s[22:23], s[20:21]
	s_cbranch_execz .LBB6_27
; %bb.26:
	global_load_ubyte v16, v[2:3], off offset:2816
.LBB6_27:
	s_or_b64 exec, exec, s[22:23]
	v_or_b32_e32 v6, 0xc00, v0
	v_cmp_gt_u32_e64 s[22:23], s34, v6
                                        ; implicit-def: $vgpr17
	s_and_saveexec_b64 s[24:25], s[22:23]
	s_cbranch_execz .LBB6_29
; %bb.28:
	global_load_ubyte v17, v[2:3], off offset:3072
.LBB6_29:
	s_or_b64 exec, exec, s[24:25]
	v_or_b32_e32 v6, 0xd00, v0
	v_cmp_gt_u32_e64 s[24:25], s34, v6
                                        ; implicit-def: $vgpr18
	s_and_saveexec_b64 s[26:27], s[24:25]
	s_cbranch_execz .LBB6_31
; %bb.30:
	global_load_ubyte v18, v[2:3], off offset:3328
.LBB6_31:
	s_or_b64 exec, exec, s[26:27]
	v_or_b32_e32 v6, 0xe00, v0
	v_cmp_gt_u32_e64 s[26:27], s34, v6
                                        ; implicit-def: $vgpr19
	s_and_saveexec_b64 s[30:31], s[26:27]
	s_cbranch_execz .LBB6_33
; %bb.32:
	global_load_ubyte v19, v[2:3], off offset:3584
.LBB6_33:
	s_or_b64 exec, exec, s[30:31]
	v_or_b32_e32 v6, 0xf00, v0
	v_cmp_gt_u32_e64 s[30:31], s34, v6
                                        ; implicit-def: $vgpr6
	s_and_saveexec_b64 s[34:35], s[30:31]
	s_cbranch_execz .LBB6_35
; %bb.34:
	global_load_ubyte v6, v[2:3], off offset:3840
.LBB6_35:
	s_or_b64 exec, exec, s[34:35]
	s_add_u32 s34, s28, s33
	s_addc_u32 s35, s29, 0
	v_lshl_add_u64 v[2:3], s[34:35], 0, v[0:1]
	s_and_saveexec_b64 s[34:35], vcc
	s_xor_b64 s[34:35], exec, s[34:35]
	s_cbranch_execnz .LBB6_55
; %bb.36:
	s_or_b64 exec, exec, s[34:35]
	s_and_saveexec_b64 s[34:35], s[0:1]
	s_cbranch_execnz .LBB6_56
.LBB6_37:
	s_or_b64 exec, exec, s[34:35]
	s_and_saveexec_b64 s[0:1], s[2:3]
	s_cbranch_execnz .LBB6_57
.LBB6_38:
	s_or_b64 exec, exec, s[0:1]
	s_and_saveexec_b64 s[0:1], s[4:5]
	s_cbranch_execnz .LBB6_58
.LBB6_39:
	s_or_b64 exec, exec, s[0:1]
	s_and_saveexec_b64 s[0:1], s[6:7]
	s_cbranch_execnz .LBB6_59
.LBB6_40:
	s_or_b64 exec, exec, s[0:1]
	s_and_saveexec_b64 s[0:1], s[8:9]
	s_cbranch_execnz .LBB6_60
.LBB6_41:
	s_or_b64 exec, exec, s[0:1]
	s_and_saveexec_b64 s[0:1], s[10:11]
	s_cbranch_execnz .LBB6_61
.LBB6_42:
	s_or_b64 exec, exec, s[0:1]
	s_and_saveexec_b64 s[0:1], s[12:13]
	s_cbranch_execnz .LBB6_62
.LBB6_43:
	s_or_b64 exec, exec, s[0:1]
	s_and_saveexec_b64 s[0:1], s[14:15]
	s_cbranch_execnz .LBB6_63
.LBB6_44:
	s_or_b64 exec, exec, s[0:1]
	s_and_saveexec_b64 s[0:1], s[16:17]
	s_cbranch_execnz .LBB6_64
.LBB6_45:
	s_or_b64 exec, exec, s[0:1]
	s_and_saveexec_b64 s[0:1], s[18:19]
	s_cbranch_execnz .LBB6_65
.LBB6_46:
	s_or_b64 exec, exec, s[0:1]
	s_and_saveexec_b64 s[0:1], s[20:21]
	s_cbranch_execnz .LBB6_66
.LBB6_47:
	s_or_b64 exec, exec, s[0:1]
	s_and_saveexec_b64 s[0:1], s[22:23]
	s_cbranch_execnz .LBB6_67
.LBB6_48:
	s_or_b64 exec, exec, s[0:1]
	s_and_saveexec_b64 s[0:1], s[24:25]
	s_cbranch_execnz .LBB6_68
.LBB6_49:
	s_or_b64 exec, exec, s[0:1]
	s_and_saveexec_b64 s[0:1], s[26:27]
	s_cbranch_execz .LBB6_51
.LBB6_50:
	s_waitcnt vmcnt(0)
	global_store_byte v[2:3], v19, off offset:3584
.LBB6_51:
	s_or_b64 exec, exec, s[0:1]
.LBB6_52:
	s_and_saveexec_b64 s[0:1], s[30:31]
	s_cbranch_execnz .LBB6_54
; %bb.53:
	s_endpgm
.LBB6_54:
	s_add_u32 s0, s28, s33
	s_addc_u32 s1, s29, 0
	v_lshl_add_u64 v[0:1], s[0:1], 0, v[0:1]
	s_waitcnt vmcnt(0)
	global_store_byte v[0:1], v6, off offset:3840
	s_endpgm
.LBB6_55:
	s_waitcnt vmcnt(0)
	global_store_byte v[2:3], v4, off
	s_or_b64 exec, exec, s[34:35]
	s_and_saveexec_b64 s[34:35], s[0:1]
	s_cbranch_execz .LBB6_37
.LBB6_56:
	s_waitcnt vmcnt(0)
	global_store_byte v[2:3], v5, off offset:256
	s_or_b64 exec, exec, s[34:35]
	s_and_saveexec_b64 s[0:1], s[2:3]
	s_cbranch_execz .LBB6_38
.LBB6_57:
	s_waitcnt vmcnt(0)
	global_store_byte v[2:3], v7, off offset:512
	s_or_b64 exec, exec, s[0:1]
	s_and_saveexec_b64 s[0:1], s[4:5]
	s_cbranch_execz .LBB6_39
.LBB6_58:
	s_waitcnt vmcnt(0)
	global_store_byte v[2:3], v8, off offset:768
	s_or_b64 exec, exec, s[0:1]
	s_and_saveexec_b64 s[0:1], s[6:7]
	s_cbranch_execz .LBB6_40
.LBB6_59:
	s_waitcnt vmcnt(0)
	global_store_byte v[2:3], v9, off offset:1024
	s_or_b64 exec, exec, s[0:1]
	s_and_saveexec_b64 s[0:1], s[8:9]
	s_cbranch_execz .LBB6_41
.LBB6_60:
	s_waitcnt vmcnt(0)
	global_store_byte v[2:3], v10, off offset:1280
	s_or_b64 exec, exec, s[0:1]
	s_and_saveexec_b64 s[0:1], s[10:11]
	s_cbranch_execz .LBB6_42
.LBB6_61:
	s_waitcnt vmcnt(0)
	global_store_byte v[2:3], v11, off offset:1536
	s_or_b64 exec, exec, s[0:1]
	s_and_saveexec_b64 s[0:1], s[12:13]
	s_cbranch_execz .LBB6_43
.LBB6_62:
	s_waitcnt vmcnt(0)
	global_store_byte v[2:3], v12, off offset:1792
	s_or_b64 exec, exec, s[0:1]
	s_and_saveexec_b64 s[0:1], s[14:15]
	s_cbranch_execz .LBB6_44
.LBB6_63:
	s_waitcnt vmcnt(0)
	global_store_byte v[2:3], v13, off offset:2048
	s_or_b64 exec, exec, s[0:1]
	s_and_saveexec_b64 s[0:1], s[16:17]
	s_cbranch_execz .LBB6_45
.LBB6_64:
	s_waitcnt vmcnt(0)
	global_store_byte v[2:3], v14, off offset:2304
	s_or_b64 exec, exec, s[0:1]
	s_and_saveexec_b64 s[0:1], s[18:19]
	s_cbranch_execz .LBB6_46
.LBB6_65:
	s_waitcnt vmcnt(0)
	global_store_byte v[2:3], v15, off offset:2560
	s_or_b64 exec, exec, s[0:1]
	s_and_saveexec_b64 s[0:1], s[20:21]
	s_cbranch_execz .LBB6_47
.LBB6_66:
	s_waitcnt vmcnt(0)
	global_store_byte v[2:3], v16, off offset:2816
	s_or_b64 exec, exec, s[0:1]
	s_and_saveexec_b64 s[0:1], s[22:23]
	s_cbranch_execz .LBB6_48
.LBB6_67:
	s_waitcnt vmcnt(0)
	global_store_byte v[2:3], v17, off offset:3072
	s_or_b64 exec, exec, s[0:1]
	s_and_saveexec_b64 s[0:1], s[24:25]
	s_cbranch_execz .LBB6_49
.LBB6_68:
	s_waitcnt vmcnt(0)
	global_store_byte v[2:3], v18, off offset:3328
	s_or_b64 exec, exec, s[0:1]
	s_and_saveexec_b64 s[0:1], s[26:27]
	s_cbranch_execnz .LBB6_50
	s_branch .LBB6_51
	.section	.rodata,"a",@progbits
	.p2align	6, 0x0
	.amdhsa_kernel _ZN7rocprim17ROCPRIM_304000_NS6detail16transform_kernelINS1_24wrapped_transform_configINS0_14default_configEN2at4cuda3cub6detail10OpaqueTypeILi1EEEEESA_PSA_SC_NS0_8identityISA_EEEEvT1_mT2_T3_
		.amdhsa_group_segment_fixed_size 0
		.amdhsa_private_segment_fixed_size 0
		.amdhsa_kernarg_size 288
		.amdhsa_user_sgpr_count 2
		.amdhsa_user_sgpr_dispatch_ptr 0
		.amdhsa_user_sgpr_queue_ptr 0
		.amdhsa_user_sgpr_kernarg_segment_ptr 1
		.amdhsa_user_sgpr_dispatch_id 0
		.amdhsa_user_sgpr_kernarg_preload_length 0
		.amdhsa_user_sgpr_kernarg_preload_offset 0
		.amdhsa_user_sgpr_private_segment_size 0
		.amdhsa_uses_dynamic_stack 0
		.amdhsa_enable_private_segment 0
		.amdhsa_system_sgpr_workgroup_id_x 1
		.amdhsa_system_sgpr_workgroup_id_y 0
		.amdhsa_system_sgpr_workgroup_id_z 0
		.amdhsa_system_sgpr_workgroup_info 0
		.amdhsa_system_vgpr_workitem_id 0
		.amdhsa_next_free_vgpr 22
		.amdhsa_next_free_sgpr 36
		.amdhsa_accum_offset 24
		.amdhsa_reserve_vcc 1
		.amdhsa_float_round_mode_32 0
		.amdhsa_float_round_mode_16_64 0
		.amdhsa_float_denorm_mode_32 3
		.amdhsa_float_denorm_mode_16_64 3
		.amdhsa_dx10_clamp 1
		.amdhsa_ieee_mode 1
		.amdhsa_fp16_overflow 0
		.amdhsa_tg_split 0
		.amdhsa_exception_fp_ieee_invalid_op 0
		.amdhsa_exception_fp_denorm_src 0
		.amdhsa_exception_fp_ieee_div_zero 0
		.amdhsa_exception_fp_ieee_overflow 0
		.amdhsa_exception_fp_ieee_underflow 0
		.amdhsa_exception_fp_ieee_inexact 0
		.amdhsa_exception_int_div_zero 0
	.end_amdhsa_kernel
	.section	.text._ZN7rocprim17ROCPRIM_304000_NS6detail16transform_kernelINS1_24wrapped_transform_configINS0_14default_configEN2at4cuda3cub6detail10OpaqueTypeILi1EEEEESA_PSA_SC_NS0_8identityISA_EEEEvT1_mT2_T3_,"axG",@progbits,_ZN7rocprim17ROCPRIM_304000_NS6detail16transform_kernelINS1_24wrapped_transform_configINS0_14default_configEN2at4cuda3cub6detail10OpaqueTypeILi1EEEEESA_PSA_SC_NS0_8identityISA_EEEEvT1_mT2_T3_,comdat
.Lfunc_end6:
	.size	_ZN7rocprim17ROCPRIM_304000_NS6detail16transform_kernelINS1_24wrapped_transform_configINS0_14default_configEN2at4cuda3cub6detail10OpaqueTypeILi1EEEEESA_PSA_SC_NS0_8identityISA_EEEEvT1_mT2_T3_, .Lfunc_end6-_ZN7rocprim17ROCPRIM_304000_NS6detail16transform_kernelINS1_24wrapped_transform_configINS0_14default_configEN2at4cuda3cub6detail10OpaqueTypeILi1EEEEESA_PSA_SC_NS0_8identityISA_EEEEvT1_mT2_T3_
                                        ; -- End function
	.section	.AMDGPU.csdata,"",@progbits
; Kernel info:
; codeLenInByte = 1572
; NumSgprs: 42
; NumVgprs: 22
; NumAgprs: 0
; TotalNumVgprs: 22
; ScratchSize: 0
; MemoryBound: 0
; FloatMode: 240
; IeeeMode: 1
; LDSByteSize: 0 bytes/workgroup (compile time only)
; SGPRBlocks: 5
; VGPRBlocks: 2
; NumSGPRsForWavesPerEU: 42
; NumVGPRsForWavesPerEU: 22
; AccumOffset: 24
; Occupancy: 8
; WaveLimiterHint : 1
; COMPUTE_PGM_RSRC2:SCRATCH_EN: 0
; COMPUTE_PGM_RSRC2:USER_SGPR: 2
; COMPUTE_PGM_RSRC2:TRAP_HANDLER: 0
; COMPUTE_PGM_RSRC2:TGID_X_EN: 1
; COMPUTE_PGM_RSRC2:TGID_Y_EN: 0
; COMPUTE_PGM_RSRC2:TGID_Z_EN: 0
; COMPUTE_PGM_RSRC2:TIDIG_COMP_CNT: 0
; COMPUTE_PGM_RSRC3_GFX90A:ACCUM_OFFSET: 5
; COMPUTE_PGM_RSRC3_GFX90A:TG_SPLIT: 0
	.section	.text._ZN7rocprim17ROCPRIM_304000_NS6detail45device_block_merge_mergepath_partition_kernelINS1_37wrapped_merge_sort_block_merge_configINS0_14default_configElN2at4cuda3cub6detail10OpaqueTypeILi1EEEEEPljNS1_19radix_merge_compareILb1ELb1ElNS0_19identity_decomposerEEEEEvT0_T1_jPSH_T2_SH_,"axG",@progbits,_ZN7rocprim17ROCPRIM_304000_NS6detail45device_block_merge_mergepath_partition_kernelINS1_37wrapped_merge_sort_block_merge_configINS0_14default_configElN2at4cuda3cub6detail10OpaqueTypeILi1EEEEEPljNS1_19radix_merge_compareILb1ELb1ElNS0_19identity_decomposerEEEEEvT0_T1_jPSH_T2_SH_,comdat
	.protected	_ZN7rocprim17ROCPRIM_304000_NS6detail45device_block_merge_mergepath_partition_kernelINS1_37wrapped_merge_sort_block_merge_configINS0_14default_configElN2at4cuda3cub6detail10OpaqueTypeILi1EEEEEPljNS1_19radix_merge_compareILb1ELb1ElNS0_19identity_decomposerEEEEEvT0_T1_jPSH_T2_SH_ ; -- Begin function _ZN7rocprim17ROCPRIM_304000_NS6detail45device_block_merge_mergepath_partition_kernelINS1_37wrapped_merge_sort_block_merge_configINS0_14default_configElN2at4cuda3cub6detail10OpaqueTypeILi1EEEEEPljNS1_19radix_merge_compareILb1ELb1ElNS0_19identity_decomposerEEEEEvT0_T1_jPSH_T2_SH_
	.globl	_ZN7rocprim17ROCPRIM_304000_NS6detail45device_block_merge_mergepath_partition_kernelINS1_37wrapped_merge_sort_block_merge_configINS0_14default_configElN2at4cuda3cub6detail10OpaqueTypeILi1EEEEEPljNS1_19radix_merge_compareILb1ELb1ElNS0_19identity_decomposerEEEEEvT0_T1_jPSH_T2_SH_
	.p2align	8
	.type	_ZN7rocprim17ROCPRIM_304000_NS6detail45device_block_merge_mergepath_partition_kernelINS1_37wrapped_merge_sort_block_merge_configINS0_14default_configElN2at4cuda3cub6detail10OpaqueTypeILi1EEEEEPljNS1_19radix_merge_compareILb1ELb1ElNS0_19identity_decomposerEEEEEvT0_T1_jPSH_T2_SH_,@function
_ZN7rocprim17ROCPRIM_304000_NS6detail45device_block_merge_mergepath_partition_kernelINS1_37wrapped_merge_sort_block_merge_configINS0_14default_configElN2at4cuda3cub6detail10OpaqueTypeILi1EEEEEPljNS1_19radix_merge_compareILb1ELb1ElNS0_19identity_decomposerEEEEEvT0_T1_jPSH_T2_SH_: ; @_ZN7rocprim17ROCPRIM_304000_NS6detail45device_block_merge_mergepath_partition_kernelINS1_37wrapped_merge_sort_block_merge_configINS0_14default_configElN2at4cuda3cub6detail10OpaqueTypeILi1EEEEEPljNS1_19radix_merge_compareILb1ELb1ElNS0_19identity_decomposerEEEEEvT0_T1_jPSH_T2_SH_
; %bb.0:
	s_load_dwordx2 s[8:9], s[0:1], 0x8
	v_lshl_or_b32 v0, s2, 7, v0
	s_waitcnt lgkmcnt(0)
	v_cmp_gt_u32_e32 vcc, s9, v0
	s_and_saveexec_b64 s[2:3], vcc
	s_cbranch_execz .LBB7_6
; %bb.1:
	s_load_dword s2, s[0:1], 0x20
	s_load_dwordx4 s[4:7], s[0:1], 0x10
	s_waitcnt lgkmcnt(0)
	s_lshr_b32 s3, s2, 9
	s_and_b32 s3, s3, 0x7ffffe
	s_add_i32 s9, s3, -1
	s_sub_i32 s3, 0, s3
	v_and_b32_e32 v1, s3, v0
	v_lshlrev_b32_e32 v1, 10, v1
	v_min_u32_e32 v2, s8, v1
	v_add_u32_e32 v1, s2, v1
	v_min_u32_e32 v4, s8, v1
	v_add_u32_e32 v1, s2, v4
	v_and_b32_e32 v3, s9, v0
	v_min_u32_e32 v1, s8, v1
	v_sub_u32_e32 v5, v1, v2
	v_lshlrev_b32_e32 v3, 10, v3
	v_min_u32_e32 v10, v5, v3
	v_sub_u32_e32 v3, v4, v2
	v_sub_u32_e32 v1, v1, v4
	v_sub_u32_e64 v1, v10, v1 clamp
	v_min_u32_e32 v11, v10, v3
	v_cmp_lt_u32_e32 vcc, v1, v11
	s_and_saveexec_b64 s[2:3], vcc
	s_cbranch_execz .LBB7_5
; %bb.2:
	s_load_dwordx2 s[0:1], s[0:1], 0x0
	v_mov_b32_e32 v5, 0
	v_mov_b32_e32 v3, v5
	s_waitcnt lgkmcnt(0)
	v_lshl_add_u64 v[6:7], v[2:3], 3, s[0:1]
	v_lshl_add_u64 v[8:9], v[4:5], 3, s[0:1]
	s_mov_b64 s[0:1], 0
.LBB7_3:                                ; =>This Inner Loop Header: Depth=1
	v_add_u32_e32 v3, v11, v1
	v_lshrrev_b32_e32 v4, 1, v3
	v_mov_b32_e32 v13, v5
	v_xad_u32 v12, v4, -1, v10
	v_lshl_add_u64 v[14:15], v[4:5], 3, v[6:7]
	v_lshl_add_u64 v[12:13], v[12:13], 3, v[8:9]
	global_load_dwordx2 v[14:15], v[14:15], off
	v_add_u32_e32 v3, 1, v4
	global_load_dwordx2 v[12:13], v[12:13], off
	s_waitcnt vmcnt(1)
	v_and_b32_e32 v15, s7, v15
	v_and_b32_e32 v14, s6, v14
	s_waitcnt vmcnt(0)
	v_and_b32_e32 v13, s7, v13
	v_and_b32_e32 v12, s6, v12
	v_cmp_gt_i64_e32 vcc, v[12:13], v[14:15]
	s_nop 1
	v_cndmask_b32_e32 v11, v11, v4, vcc
	v_cndmask_b32_e32 v1, v3, v1, vcc
	v_cmp_ge_u32_e32 vcc, v1, v11
	s_or_b64 s[0:1], vcc, s[0:1]
	s_andn2_b64 exec, exec, s[0:1]
	s_cbranch_execnz .LBB7_3
; %bb.4:
	s_or_b64 exec, exec, s[0:1]
.LBB7_5:
	s_or_b64 exec, exec, s[2:3]
	v_mov_b32_e32 v4, s4
	v_mov_b32_e32 v5, s5
	v_add_u32_e32 v2, v1, v2
	v_mov_b32_e32 v1, 0
	v_lshl_add_u64 v[0:1], v[0:1], 2, v[4:5]
	global_store_dword v[0:1], v2, off
.LBB7_6:
	s_endpgm
	.section	.rodata,"a",@progbits
	.p2align	6, 0x0
	.amdhsa_kernel _ZN7rocprim17ROCPRIM_304000_NS6detail45device_block_merge_mergepath_partition_kernelINS1_37wrapped_merge_sort_block_merge_configINS0_14default_configElN2at4cuda3cub6detail10OpaqueTypeILi1EEEEEPljNS1_19radix_merge_compareILb1ELb1ElNS0_19identity_decomposerEEEEEvT0_T1_jPSH_T2_SH_
		.amdhsa_group_segment_fixed_size 0
		.amdhsa_private_segment_fixed_size 0
		.amdhsa_kernarg_size 36
		.amdhsa_user_sgpr_count 2
		.amdhsa_user_sgpr_dispatch_ptr 0
		.amdhsa_user_sgpr_queue_ptr 0
		.amdhsa_user_sgpr_kernarg_segment_ptr 1
		.amdhsa_user_sgpr_dispatch_id 0
		.amdhsa_user_sgpr_kernarg_preload_length 0
		.amdhsa_user_sgpr_kernarg_preload_offset 0
		.amdhsa_user_sgpr_private_segment_size 0
		.amdhsa_uses_dynamic_stack 0
		.amdhsa_enable_private_segment 0
		.amdhsa_system_sgpr_workgroup_id_x 1
		.amdhsa_system_sgpr_workgroup_id_y 0
		.amdhsa_system_sgpr_workgroup_id_z 0
		.amdhsa_system_sgpr_workgroup_info 0
		.amdhsa_system_vgpr_workitem_id 0
		.amdhsa_next_free_vgpr 16
		.amdhsa_next_free_sgpr 10
		.amdhsa_accum_offset 16
		.amdhsa_reserve_vcc 1
		.amdhsa_float_round_mode_32 0
		.amdhsa_float_round_mode_16_64 0
		.amdhsa_float_denorm_mode_32 3
		.amdhsa_float_denorm_mode_16_64 3
		.amdhsa_dx10_clamp 1
		.amdhsa_ieee_mode 1
		.amdhsa_fp16_overflow 0
		.amdhsa_tg_split 0
		.amdhsa_exception_fp_ieee_invalid_op 0
		.amdhsa_exception_fp_denorm_src 0
		.amdhsa_exception_fp_ieee_div_zero 0
		.amdhsa_exception_fp_ieee_overflow 0
		.amdhsa_exception_fp_ieee_underflow 0
		.amdhsa_exception_fp_ieee_inexact 0
		.amdhsa_exception_int_div_zero 0
	.end_amdhsa_kernel
	.section	.text._ZN7rocprim17ROCPRIM_304000_NS6detail45device_block_merge_mergepath_partition_kernelINS1_37wrapped_merge_sort_block_merge_configINS0_14default_configElN2at4cuda3cub6detail10OpaqueTypeILi1EEEEEPljNS1_19radix_merge_compareILb1ELb1ElNS0_19identity_decomposerEEEEEvT0_T1_jPSH_T2_SH_,"axG",@progbits,_ZN7rocprim17ROCPRIM_304000_NS6detail45device_block_merge_mergepath_partition_kernelINS1_37wrapped_merge_sort_block_merge_configINS0_14default_configElN2at4cuda3cub6detail10OpaqueTypeILi1EEEEEPljNS1_19radix_merge_compareILb1ELb1ElNS0_19identity_decomposerEEEEEvT0_T1_jPSH_T2_SH_,comdat
.Lfunc_end7:
	.size	_ZN7rocprim17ROCPRIM_304000_NS6detail45device_block_merge_mergepath_partition_kernelINS1_37wrapped_merge_sort_block_merge_configINS0_14default_configElN2at4cuda3cub6detail10OpaqueTypeILi1EEEEEPljNS1_19radix_merge_compareILb1ELb1ElNS0_19identity_decomposerEEEEEvT0_T1_jPSH_T2_SH_, .Lfunc_end7-_ZN7rocprim17ROCPRIM_304000_NS6detail45device_block_merge_mergepath_partition_kernelINS1_37wrapped_merge_sort_block_merge_configINS0_14default_configElN2at4cuda3cub6detail10OpaqueTypeILi1EEEEEPljNS1_19radix_merge_compareILb1ELb1ElNS0_19identity_decomposerEEEEEvT0_T1_jPSH_T2_SH_
                                        ; -- End function
	.section	.AMDGPU.csdata,"",@progbits
; Kernel info:
; codeLenInByte = 344
; NumSgprs: 16
; NumVgprs: 16
; NumAgprs: 0
; TotalNumVgprs: 16
; ScratchSize: 0
; MemoryBound: 0
; FloatMode: 240
; IeeeMode: 1
; LDSByteSize: 0 bytes/workgroup (compile time only)
; SGPRBlocks: 1
; VGPRBlocks: 1
; NumSGPRsForWavesPerEU: 16
; NumVGPRsForWavesPerEU: 16
; AccumOffset: 16
; Occupancy: 8
; WaveLimiterHint : 0
; COMPUTE_PGM_RSRC2:SCRATCH_EN: 0
; COMPUTE_PGM_RSRC2:USER_SGPR: 2
; COMPUTE_PGM_RSRC2:TRAP_HANDLER: 0
; COMPUTE_PGM_RSRC2:TGID_X_EN: 1
; COMPUTE_PGM_RSRC2:TGID_Y_EN: 0
; COMPUTE_PGM_RSRC2:TGID_Z_EN: 0
; COMPUTE_PGM_RSRC2:TIDIG_COMP_CNT: 0
; COMPUTE_PGM_RSRC3_GFX90A:ACCUM_OFFSET: 3
; COMPUTE_PGM_RSRC3_GFX90A:TG_SPLIT: 0
	.section	.text._ZN7rocprim17ROCPRIM_304000_NS6detail35device_block_merge_mergepath_kernelINS1_37wrapped_merge_sort_block_merge_configINS0_14default_configElN2at4cuda3cub6detail10OpaqueTypeILi1EEEEEPlSC_PSA_SD_jNS1_19radix_merge_compareILb1ELb1ElNS0_19identity_decomposerEEEEEvT0_T1_T2_T3_T4_SL_jT5_PKSL_NS1_7vsmem_tE,"axG",@progbits,_ZN7rocprim17ROCPRIM_304000_NS6detail35device_block_merge_mergepath_kernelINS1_37wrapped_merge_sort_block_merge_configINS0_14default_configElN2at4cuda3cub6detail10OpaqueTypeILi1EEEEEPlSC_PSA_SD_jNS1_19radix_merge_compareILb1ELb1ElNS0_19identity_decomposerEEEEEvT0_T1_T2_T3_T4_SL_jT5_PKSL_NS1_7vsmem_tE,comdat
	.protected	_ZN7rocprim17ROCPRIM_304000_NS6detail35device_block_merge_mergepath_kernelINS1_37wrapped_merge_sort_block_merge_configINS0_14default_configElN2at4cuda3cub6detail10OpaqueTypeILi1EEEEEPlSC_PSA_SD_jNS1_19radix_merge_compareILb1ELb1ElNS0_19identity_decomposerEEEEEvT0_T1_T2_T3_T4_SL_jT5_PKSL_NS1_7vsmem_tE ; -- Begin function _ZN7rocprim17ROCPRIM_304000_NS6detail35device_block_merge_mergepath_kernelINS1_37wrapped_merge_sort_block_merge_configINS0_14default_configElN2at4cuda3cub6detail10OpaqueTypeILi1EEEEEPlSC_PSA_SD_jNS1_19radix_merge_compareILb1ELb1ElNS0_19identity_decomposerEEEEEvT0_T1_T2_T3_T4_SL_jT5_PKSL_NS1_7vsmem_tE
	.globl	_ZN7rocprim17ROCPRIM_304000_NS6detail35device_block_merge_mergepath_kernelINS1_37wrapped_merge_sort_block_merge_configINS0_14default_configElN2at4cuda3cub6detail10OpaqueTypeILi1EEEEEPlSC_PSA_SD_jNS1_19radix_merge_compareILb1ELb1ElNS0_19identity_decomposerEEEEEvT0_T1_T2_T3_T4_SL_jT5_PKSL_NS1_7vsmem_tE
	.p2align	8
	.type	_ZN7rocprim17ROCPRIM_304000_NS6detail35device_block_merge_mergepath_kernelINS1_37wrapped_merge_sort_block_merge_configINS0_14default_configElN2at4cuda3cub6detail10OpaqueTypeILi1EEEEEPlSC_PSA_SD_jNS1_19radix_merge_compareILb1ELb1ElNS0_19identity_decomposerEEEEEvT0_T1_T2_T3_T4_SL_jT5_PKSL_NS1_7vsmem_tE,@function
_ZN7rocprim17ROCPRIM_304000_NS6detail35device_block_merge_mergepath_kernelINS1_37wrapped_merge_sort_block_merge_configINS0_14default_configElN2at4cuda3cub6detail10OpaqueTypeILi1EEEEEPlSC_PSA_SD_jNS1_19radix_merge_compareILb1ELb1ElNS0_19identity_decomposerEEEEEvT0_T1_T2_T3_T4_SL_jT5_PKSL_NS1_7vsmem_tE: ; @_ZN7rocprim17ROCPRIM_304000_NS6detail35device_block_merge_mergepath_kernelINS1_37wrapped_merge_sort_block_merge_configINS0_14default_configElN2at4cuda3cub6detail10OpaqueTypeILi1EEEEEPlSC_PSA_SD_jNS1_19radix_merge_compareILb1ELb1ElNS0_19identity_decomposerEEEEEvT0_T1_T2_T3_T4_SL_jT5_PKSL_NS1_7vsmem_tE
; %bb.0:
	s_load_dwordx2 s[28:29], s[0:1], 0x48
	s_load_dwordx4 s[12:15], s[0:1], 0x20
	s_add_u32 s26, s0, 0x48
	s_addc_u32 s27, s1, 0
	s_waitcnt lgkmcnt(0)
	s_mul_i32 s4, s29, s4
	s_add_i32 s3, s4, s3
	s_mul_i32 s3, s3, s28
	s_add_i32 s24, s3, s2
	s_cmp_ge_u32 s24, s14
	s_cbranch_scc1 .LBB8_69
; %bb.1:
	s_load_dwordx8 s[4:11], s[0:1], 0x0
	s_load_dwordx4 s[16:19], s[0:1], 0x30
	s_lshr_b32 s33, s12, 10
	s_cmp_lg_u32 s24, s33
	s_mov_b32 s25, 0
	s_cselect_b64 s[20:21], -1, 0
	s_lshl_b64 s[0:1], s[24:25], 2
	s_waitcnt lgkmcnt(0)
	s_add_u32 s0, s18, s0
	s_addc_u32 s1, s19, s1
	s_load_dwordx2 s[18:19], s[0:1], 0x0
	s_lshr_b32 s0, s13, 9
	s_and_b32 s0, s0, 0x7ffffe
	s_sub_i32 s0, 0, s0
	s_and_b32 s1, s24, s0
	s_lshl_b32 s3, s1, 10
	s_lshl_b32 s14, s24, 10
	;; [unrolled: 1-line block ×3, first 2 shown]
	s_sub_i32 s15, s14, s3
	s_add_i32 s1, s1, s13
	s_add_i32 s15, s1, s15
	s_waitcnt lgkmcnt(0)
	s_sub_i32 s22, s15, s18
	s_sub_i32 s15, s15, s19
	;; [unrolled: 1-line block ×3, first 2 shown]
	s_min_u32 s22, s12, s22
	s_addk_i32 s15, 0x400
	s_or_b32 s0, s24, s0
	s_min_u32 s3, s12, s1
	s_add_i32 s1, s1, s13
	s_cmp_eq_u32 s0, -1
	s_cselect_b32 s0, s1, s15
	s_cselect_b32 s1, s3, s19
	s_min_u32 s0, s0, s12
	s_mov_b32 s19, s25
	s_sub_i32 s15, s1, s18
	s_sub_i32 s29, s0, s22
	s_lshl_b64 s[0:1], s[18:19], 3
	s_add_u32 s0, s4, s0
	s_mov_b32 s23, s25
	s_addc_u32 s1, s5, s1
	s_lshl_b64 s[30:31], s[22:23], 3
	s_add_u32 s4, s4, s30
	s_addc_u32 s5, s5, s31
	s_cmp_lt_u32 s2, s28
	v_mov_b32_e32 v11, 0
	s_cselect_b32 s2, 12, 18
	global_load_dword v1, v11, s[26:27] offset:14
	s_add_u32 s2, s26, s2
	s_addc_u32 s3, s27, 0
	global_load_ushort v2, v11, s[2:3]
	v_cmp_gt_u32_e32 vcc, s15, v0
	s_cmp_eq_u32 s24, s33
	v_lshlrev_b32_e32 v10, 3, v0
	s_waitcnt vmcnt(1)
	v_lshrrev_b32_e32 v3, 16, v1
	v_and_b32_e32 v1, 0xffff, v1
	v_mul_lo_u32 v1, v1, v3
	s_waitcnt vmcnt(0)
	v_mul_lo_u32 v1, v1, v2
	v_add_u32_e32 v14, v1, v0
	v_add_u32_e32 v12, v14, v1
	s_cbranch_scc1 .LBB8_3
; %bb.2:
	v_subrev_u32_e32 v4, s15, v0
	v_mov_b32_e32 v5, v11
	v_lshl_add_u64 v[2:3], s[0:1], 0, v[10:11]
	v_lshl_add_u64 v[4:5], v[4:5], 3, s[4:5]
	v_mov_b32_e32 v15, v11
	v_subrev_u32_e32 v6, s15, v14
	v_mov_b32_e32 v7, v11
	v_cndmask_b32_e32 v3, v5, v3, vcc
	v_cndmask_b32_e32 v2, v4, v2, vcc
	v_lshl_add_u64 v[4:5], v[14:15], 3, s[0:1]
	v_lshl_add_u64 v[6:7], v[6:7], 3, s[4:5]
	v_cmp_gt_u32_e32 vcc, s15, v14
	v_mov_b32_e32 v13, v11
	v_subrev_u32_e32 v8, s15, v12
	v_mov_b32_e32 v9, v11
	v_cndmask_b32_e32 v5, v7, v5, vcc
	v_cndmask_b32_e32 v4, v6, v4, vcc
	v_lshl_add_u64 v[6:7], v[12:13], 3, s[0:1]
	v_lshl_add_u64 v[8:9], v[8:9], 3, s[4:5]
	v_cmp_gt_u32_e32 vcc, s15, v12
	v_mov_b32_e32 v19, v11
	global_load_dwordx2 v[2:3], v[2:3], off
	v_cndmask_b32_e32 v6, v8, v6, vcc
	v_add_u32_e32 v8, v12, v1
	v_cndmask_b32_e32 v7, v9, v7, vcc
	v_mov_b32_e32 v9, v11
	v_subrev_u32_e32 v18, s15, v8
	v_lshl_add_u64 v[16:17], v[8:9], 3, s[0:1]
	v_lshl_add_u64 v[18:19], v[18:19], 3, s[4:5]
	v_cmp_gt_u32_e32 vcc, s15, v8
	global_load_dwordx2 v[4:5], v[4:5], off
	s_add_i32 s13, s29, s15
	v_cndmask_b32_e32 v9, v19, v17, vcc
	v_cndmask_b32_e32 v8, v18, v16, vcc
	global_load_dwordx2 v[6:7], v[6:7], off
	s_nop 0
	global_load_dwordx2 v[8:9], v[8:9], off
	s_cbranch_execz .LBB8_4
	s_branch .LBB8_11
.LBB8_3:
                                        ; implicit-def: $vgpr2_vgpr3_vgpr4_vgpr5_vgpr6_vgpr7_vgpr8_vgpr9
                                        ; implicit-def: $sgpr13
.LBB8_4:
	s_add_i32 s13, s29, s15
	v_cmp_gt_u32_e32 vcc, s13, v0
                                        ; implicit-def: $vgpr2_vgpr3_vgpr4_vgpr5_vgpr6_vgpr7_vgpr8_vgpr9
	s_and_saveexec_b64 s[2:3], vcc
	s_cbranch_execnz .LBB8_70
; %bb.5:
	s_or_b64 exec, exec, s[2:3]
	v_cmp_gt_u32_e32 vcc, s13, v14
	s_and_saveexec_b64 s[2:3], vcc
	s_cbranch_execnz .LBB8_71
.LBB8_6:
	s_or_b64 exec, exec, s[2:3]
	v_cmp_gt_u32_e32 vcc, s13, v12
	s_and_saveexec_b64 s[2:3], vcc
	s_cbranch_execz .LBB8_8
.LBB8_7:
	v_mov_b32_e32 v13, 0
	v_subrev_u32_e32 v14, s15, v12
	v_mov_b32_e32 v15, v13
	s_waitcnt vmcnt(1)
	v_lshl_add_u64 v[6:7], v[12:13], 3, s[0:1]
	v_lshl_add_u64 v[14:15], v[14:15], 3, s[4:5]
	v_cmp_gt_u32_e32 vcc, s15, v12
	s_nop 1
	v_cndmask_b32_e32 v7, v15, v7, vcc
	v_cndmask_b32_e32 v6, v14, v6, vcc
	global_load_dwordx2 v[6:7], v[6:7], off
.LBB8_8:
	s_or_b64 exec, exec, s[2:3]
	v_add_u32_e32 v12, v12, v1
	v_cmp_gt_u32_e32 vcc, s13, v12
	s_and_saveexec_b64 s[2:3], vcc
	s_cbranch_execz .LBB8_10
; %bb.9:
	v_mov_b32_e32 v13, 0
	s_waitcnt vmcnt(0)
	v_lshl_add_u64 v[8:9], v[12:13], 3, s[0:1]
	v_cmp_gt_u32_e32 vcc, s15, v12
	v_subrev_u32_e32 v12, s15, v12
	v_lshl_add_u64 v[12:13], v[12:13], 3, s[4:5]
	v_cndmask_b32_e32 v9, v13, v9, vcc
	v_cndmask_b32_e32 v8, v12, v8, vcc
	global_load_dwordx2 v[8:9], v[8:9], off
.LBB8_10:
	s_or_b64 exec, exec, s[2:3]
.LBB8_11:
	v_lshlrev_b32_e32 v11, 2, v0
	v_min_u32_e32 v12, s13, v11
	v_sub_u32_e64 v1, v12, s29 clamp
	v_min_u32_e32 v13, s15, v12
	v_cmp_lt_u32_e32 vcc, v1, v13
	s_waitcnt vmcnt(0)
	ds_write2st64_b64 v10, v[2:3], v[4:5] offset1:4
	ds_write2st64_b64 v10, v[6:7], v[8:9] offset0:8 offset1:12
	s_waitcnt lgkmcnt(0)
	s_barrier
	s_and_saveexec_b64 s[0:1], vcc
	s_cbranch_execz .LBB8_15
; %bb.12:
	v_lshlrev_b32_e32 v14, 3, v12
	v_lshl_add_u32 v14, s15, 3, v14
	s_mov_b64 s[2:3], 0
.LBB8_13:                               ; =>This Inner Loop Header: Depth=1
	v_add_u32_e32 v15, v13, v1
	v_lshrrev_b32_e32 v15, 1, v15
	v_not_b32_e32 v18, v15
	v_lshlrev_b32_e32 v16, 3, v15
	v_lshl_add_u32 v18, v18, 3, v14
	ds_read_b64 v[16:17], v16
	ds_read_b64 v[18:19], v18
	v_add_u32_e32 v20, 1, v15
	s_waitcnt lgkmcnt(1)
	v_and_b32_e32 v17, s17, v17
	v_and_b32_e32 v16, s16, v16
	s_waitcnt lgkmcnt(0)
	v_and_b32_e32 v19, s17, v19
	v_and_b32_e32 v18, s16, v18
	v_cmp_gt_i64_e32 vcc, v[18:19], v[16:17]
	s_nop 1
	v_cndmask_b32_e32 v13, v13, v15, vcc
	v_cndmask_b32_e32 v1, v20, v1, vcc
	v_cmp_ge_u32_e32 vcc, v1, v13
	s_or_b64 s[2:3], vcc, s[2:3]
	s_andn2_b64 exec, exec, s[2:3]
	s_cbranch_execnz .LBB8_13
; %bb.14:
	s_or_b64 exec, exec, s[2:3]
.LBB8_15:
	s_or_b64 exec, exec, s[0:1]
	v_sub_u32_e32 v12, v12, v1
	v_add_u32_e32 v12, s15, v12
	v_cmp_ge_u32_e32 vcc, s15, v1
	v_cmp_ge_u32_e64 s[0:1], s13, v12
	s_or_b64 s[0:1], vcc, s[0:1]
                                        ; implicit-def: $vgpr20
                                        ; implicit-def: $vgpr21
                                        ; implicit-def: $vgpr19
                                        ; implicit-def: $vgpr18
	s_and_saveexec_b64 s[24:25], s[0:1]
	s_cbranch_execz .LBB8_21
; %bb.16:
	v_cmp_gt_u32_e32 vcc, s15, v1
                                        ; implicit-def: $vgpr2_vgpr3
	s_and_saveexec_b64 s[0:1], vcc
	s_cbranch_execz .LBB8_18
; %bb.17:
	v_lshlrev_b32_e32 v2, 3, v1
	ds_read_b64 v[2:3], v2
.LBB8_18:
	s_or_b64 exec, exec, s[0:1]
	v_cmp_le_u32_e64 s[0:1], s13, v12
	v_cmp_gt_u32_e64 s[2:3], s13, v12
                                        ; implicit-def: $vgpr4_vgpr5
	s_and_saveexec_b64 s[4:5], s[2:3]
	s_cbranch_execz .LBB8_20
; %bb.19:
	v_lshlrev_b32_e32 v4, 3, v12
	ds_read_b64 v[4:5], v4
.LBB8_20:
	s_or_b64 exec, exec, s[4:5]
	s_waitcnt lgkmcnt(0)
	v_and_b32_e32 v7, s17, v5
	v_and_b32_e32 v6, s16, v4
	;; [unrolled: 1-line block ×4, first 2 shown]
	v_cmp_le_i64_e64 s[2:3], v[6:7], v[8:9]
	s_and_b64 s[2:3], vcc, s[2:3]
	s_or_b64 vcc, s[0:1], s[2:3]
	v_mov_b32_e32 v13, s13
	v_mov_b32_e32 v14, s15
	v_cndmask_b32_e32 v18, v12, v1, vcc
	v_cndmask_b32_e32 v6, v13, v14, vcc
	v_add_u32_e32 v8, 1, v18
	v_add_u32_e32 v6, -1, v6
	v_min_u32_e32 v6, v8, v6
	v_lshlrev_b32_e32 v6, 3, v6
	ds_read_b64 v[6:7], v6
	v_cndmask_b32_e32 v12, v8, v12, vcc
	v_cndmask_b32_e32 v1, v1, v8, vcc
	v_cmp_gt_u32_e64 s[2:3], s15, v1
	v_cmp_le_u32_e64 s[0:1], s13, v12
	s_waitcnt lgkmcnt(0)
	v_cndmask_b32_e32 v15, v7, v5, vcc
	v_cndmask_b32_e32 v16, v6, v4, vcc
	;; [unrolled: 1-line block ×4, first 2 shown]
	v_and_b32_e32 v7, s17, v15
	v_and_b32_e32 v6, s16, v16
	;; [unrolled: 1-line block ×4, first 2 shown]
	v_cmp_le_i64_e64 s[4:5], v[6:7], v[8:9]
	s_and_b64 s[2:3], s[2:3], s[4:5]
	s_or_b64 s[0:1], s[0:1], s[2:3]
	v_cndmask_b32_e64 v19, v12, v1, s[0:1]
	v_cndmask_b32_e64 v6, v13, v14, s[0:1]
	v_add_u32_e32 v8, 1, v19
	v_add_u32_e32 v6, -1, v6
	v_min_u32_e32 v6, v8, v6
	v_lshlrev_b32_e32 v6, 3, v6
	ds_read_b64 v[6:7], v6
	v_cndmask_b32_e32 v3, v5, v3, vcc
	v_cndmask_b32_e32 v2, v4, v2, vcc
	v_cndmask_b32_e64 v1, v1, v8, s[0:1]
	v_cndmask_b32_e64 v12, v8, v12, s[0:1]
	s_waitcnt lgkmcnt(0)
	v_cndmask_b32_e64 v22, v7, v15, s[0:1]
	v_cndmask_b32_e64 v23, v6, v16, s[0:1]
	;; [unrolled: 1-line block ×4, first 2 shown]
	v_and_b32_e32 v5, s17, v22
	v_and_b32_e32 v4, s16, v23
	;; [unrolled: 1-line block ×4, first 2 shown]
	v_cmp_gt_u32_e64 s[2:3], s15, v1
	v_cmp_le_i64_e64 s[4:5], v[4:5], v[6:7]
	v_cmp_le_u32_e32 vcc, s13, v12
	s_and_b64 s[2:3], s[2:3], s[4:5]
	s_or_b64 vcc, vcc, s[2:3]
	v_cndmask_b32_e32 v21, v12, v1, vcc
	v_cndmask_b32_e32 v4, v13, v14, vcc
	v_add_u32_e32 v13, 1, v21
	v_add_u32_e32 v4, -1, v4
	v_min_u32_e32 v4, v13, v4
	v_lshlrev_b32_e32 v4, 3, v4
	ds_read_b64 v[8:9], v4
	v_cndmask_b32_e64 v5, v15, v17, s[0:1]
	v_cndmask_b32_e64 v4, v16, v20, s[0:1]
	v_cndmask_b32_e32 v20, v13, v12, vcc
	v_cndmask_b32_e32 v1, v1, v13, vcc
	s_waitcnt lgkmcnt(0)
	v_cndmask_b32_e32 v14, v9, v22, vcc
	v_cndmask_b32_e32 v15, v8, v23, vcc
	;; [unrolled: 1-line block ×4, first 2 shown]
	v_and_b32_e32 v9, s17, v14
	v_and_b32_e32 v8, s16, v15
	;; [unrolled: 1-line block ×4, first 2 shown]
	v_cmp_gt_u32_e64 s[0:1], s15, v1
	v_cmp_le_i64_e64 s[2:3], v[8:9], v[12:13]
	v_cndmask_b32_e32 v7, v22, v24, vcc
	v_cndmask_b32_e32 v6, v23, v25, vcc
	v_cmp_le_u32_e32 vcc, s13, v20
	s_and_b64 s[0:1], s[0:1], s[2:3]
	s_or_b64 vcc, vcc, s[0:1]
	v_cndmask_b32_e32 v20, v20, v1, vcc
	v_cndmask_b32_e32 v9, v14, v16, vcc
	;; [unrolled: 1-line block ×3, first 2 shown]
.LBB8_21:
	s_or_b64 exec, exec, s[24:25]
	s_add_u32 s24, s8, s18
	s_addc_u32 s25, s9, 0
	v_mov_b32_e32 v1, 0
	s_add_u32 s16, s8, s22
	v_cndmask_b32_e64 v12, 0, 1, s[20:21]
	s_addc_u32 s17, s9, 0
	v_cmp_gt_u32_e64 s[4:5], s15, v0
	v_cmp_le_u32_e64 s[2:3], s15, v0
	v_cmp_ne_u32_e64 s[0:1], 1, v12
	s_andn2_b64 vcc, exec, s[20:21]
	v_lshl_add_u64 v[12:13], s[24:25], 0, v[0:1]
	s_barrier
	s_cbranch_vccnz .LBB8_23
; %bb.22:
	v_subrev_u32_e32 v14, s15, v0
	v_mov_b32_e32 v15, v1
	v_lshl_add_u64 v[14:15], s[16:17], 0, v[14:15]
	v_lshl_add_u64 v[22:23], s[24:25], 0, v[0:1]
	v_or_b32_e32 v25, 0x100, v0
	v_cndmask_b32_e64 v15, v15, v23, s[4:5]
	v_cndmask_b32_e64 v14, v14, v22, s[4:5]
	s_mov_b64 s[4:5], 0x100
	v_subrev_u32_e32 v16, s15, v25
	v_mov_b32_e32 v17, v1
	global_load_ubyte v24, v[14:15], off
	v_lshl_add_u64 v[14:15], v[22:23], 0, s[4:5]
	v_lshl_add_u64 v[16:17], s[16:17], 0, v[16:17]
	v_cmp_gt_u32_e32 vcc, s15, v25
	v_or_b32_e32 v26, 0x200, v0
	s_mov_b64 s[4:5], 0x200
	v_cndmask_b32_e32 v15, v17, v15, vcc
	v_cndmask_b32_e32 v14, v16, v14, vcc
	v_subrev_u32_e32 v16, s15, v26
	v_mov_b32_e32 v17, v1
	global_load_ubyte v25, v[14:15], off
	v_lshl_add_u64 v[14:15], v[22:23], 0, s[4:5]
	v_lshl_add_u64 v[16:17], s[16:17], 0, v[16:17]
	v_cmp_gt_u32_e32 vcc, s15, v26
	s_mov_b64 s[4:5], 0x300
	v_lshl_add_u64 v[22:23], v[22:23], 0, s[4:5]
	v_cndmask_b32_e32 v15, v17, v15, vcc
	v_cndmask_b32_e32 v14, v16, v14, vcc
	global_load_ubyte v17, v[14:15], off
	v_or_b32_e32 v16, 0x300, v0
	v_mov_b32_e32 v15, v1
	v_subrev_u32_e32 v14, s15, v16
	v_lshl_add_u64 v[14:15], s[16:17], 0, v[14:15]
	v_cmp_gt_u32_e32 vcc, s15, v16
	s_mov_b64 s[4:5], -1
	s_nop 0
	v_cndmask_b32_e32 v15, v15, v23, vcc
	v_cndmask_b32_e32 v14, v14, v22, vcc
	s_waitcnt vmcnt(2)
	ds_write_b8 v0, v24
	s_waitcnt vmcnt(1)
	ds_write_b8 v0, v25 offset:256
	s_waitcnt vmcnt(0)
	ds_write_b8 v0, v17 offset:512
	s_cbranch_execz .LBB8_24
	s_branch .LBB8_43
.LBB8_23:
	s_mov_b64 s[4:5], 0
                                        ; implicit-def: $vgpr16
                                        ; implicit-def: $vgpr14_vgpr15
.LBB8_24:
	s_mov_b64 s[24:25], 0
                                        ; implicit-def: $vgpr14_vgpr15
	s_and_saveexec_b64 s[26:27], s[2:3]
	s_xor_b64 s[2:3], exec, s[26:27]
	s_cbranch_execnz .LBB8_72
; %bb.25:
	s_andn2_saveexec_b64 s[2:3], s[2:3]
	s_cbranch_execnz .LBB8_75
.LBB8_26:
	s_or_b64 exec, exec, s[2:3]
	s_and_saveexec_b64 s[2:3], s[24:25]
	s_cbranch_execz .LBB8_28
.LBB8_27:
	global_load_ubyte v1, v[14:15], off
	s_waitcnt vmcnt(0)
	ds_write_b8 v0, v1
.LBB8_28:
	s_or_b64 exec, exec, s[2:3]
	v_or_b32_e32 v14, 0x100, v0
	v_cmp_le_u32_e32 vcc, s15, v14
	s_mov_b64 s[2:3], -1
	v_mov_b64_e32 v[16:17], s[18:19]
	s_and_saveexec_b64 s[24:25], vcc
; %bb.29:
	v_subrev_u32_e32 v14, s15, v14
	v_cmp_gt_u32_e32 vcc, s29, v14
	v_mov_b64_e32 v[16:17], s[22:23]
	s_orn2_b64 s[2:3], vcc, exec
; %bb.30:
	s_or_b64 exec, exec, s[24:25]
	s_and_saveexec_b64 s[24:25], s[2:3]
	s_cbranch_execz .LBB8_32
; %bb.31:
	v_lshl_add_u64 v[16:17], s[8:9], 0, v[16:17]
	v_mov_b32_e32 v15, 0
	v_lshl_add_u64 v[14:15], v[16:17], 0, v[14:15]
	global_load_ubyte v1, v[14:15], off
	s_waitcnt vmcnt(0)
	ds_write_b8 v0, v1 offset:256
.LBB8_32:
	s_or_b64 exec, exec, s[24:25]
	v_or_b32_e32 v14, 0x200, v0
	v_cmp_le_u32_e32 vcc, s15, v14
	s_mov_b64 s[2:3], -1
	v_mov_b64_e32 v[16:17], s[18:19]
	s_and_saveexec_b64 s[18:19], vcc
; %bb.33:
	v_subrev_u32_e32 v14, s15, v14
	v_cmp_gt_u32_e32 vcc, s29, v14
	v_mov_b64_e32 v[16:17], s[22:23]
	s_orn2_b64 s[2:3], vcc, exec
; %bb.34:
	s_or_b64 exec, exec, s[18:19]
	s_and_saveexec_b64 s[18:19], s[2:3]
	s_cbranch_execz .LBB8_36
; %bb.35:
	v_lshl_add_u64 v[16:17], s[8:9], 0, v[16:17]
	v_mov_b32_e32 v15, 0
	v_lshl_add_u64 v[14:15], v[16:17], 0, v[14:15]
	global_load_ubyte v1, v[14:15], off
	s_waitcnt vmcnt(0)
	ds_write_b8 v0, v1 offset:512
.LBB8_36:
	s_or_b64 exec, exec, s[18:19]
	v_or_b32_e32 v1, 0x300, v0
	v_cmp_le_u32_e32 vcc, s15, v1
                                        ; implicit-def: $vgpr16
                                        ; implicit-def: $vgpr14_vgpr15
	s_and_saveexec_b64 s[2:3], vcc
	s_xor_b64 s[2:3], exec, s[2:3]
	s_cbranch_execz .LBB8_40
; %bb.37:
	v_subrev_u32_e32 v12, s15, v1
	v_cmp_gt_u32_e32 vcc, s29, v12
	s_mov_b64 s[8:9], s[4:5]
                                        ; implicit-def: $vgpr16
                                        ; implicit-def: $vgpr14_vgpr15
	s_and_saveexec_b64 s[18:19], vcc
; %bb.38:
	v_mov_b32_e32 v13, 0
	v_or_b32_e32 v16, 0x300, v0
	v_lshl_add_u64 v[14:15], s[16:17], 0, v[12:13]
	s_or_b64 s[8:9], s[4:5], exec
; %bb.39:
	s_or_b64 exec, exec, s[18:19]
	s_andn2_b64 s[4:5], s[4:5], exec
	s_and_b64 s[8:9], s[8:9], exec
	s_or_b64 s[4:5], s[4:5], s[8:9]
                                        ; implicit-def: $vgpr12_vgpr13
.LBB8_40:
	s_andn2_saveexec_b64 s[2:3], s[2:3]
; %bb.41:
	s_mov_b64 s[8:9], 0x300
	v_lshl_add_u64 v[14:15], v[12:13], 0, s[8:9]
	v_or_b32_e32 v16, 0x300, v0
	s_or_b64 s[4:5], s[4:5], exec
; %bb.42:
	s_or_b64 exec, exec, s[2:3]
.LBB8_43:
	s_and_saveexec_b64 s[2:3], s[4:5]
	s_cbranch_execz .LBB8_45
; %bb.44:
	global_load_ubyte v1, v[14:15], off
	s_waitcnt vmcnt(0)
	ds_write_b8 v16, v1
.LBB8_45:
	s_or_b64 exec, exec, s[2:3]
	s_and_b64 vcc, exec, s[0:1]
	v_add_u32_e32 v12, s14, v11
	s_waitcnt lgkmcnt(0)
	s_barrier
	s_cbranch_vccnz .LBB8_47
; %bb.46:
	ds_read_u8 v1, v19
	ds_read_u8 v14, v21
	ds_read_u8 v15, v18
	v_mov_b32_e32 v13, 0
	s_waitcnt lgkmcnt(2)
	v_lshlrev_b16_e32 v1, 8, v1
	s_mov_b64 s[0:1], -1
	s_waitcnt lgkmcnt(0)
	v_or_b32_e32 v1, v15, v1
	global_store_byte v12, v14, s[10:11] offset:2
	global_store_short v12, v1, s[10:11]
	s_cbranch_execz .LBB8_48
	s_branch .LBB8_57
.LBB8_47:
	s_mov_b64 s[0:1], 0
.LBB8_48:
	v_cmp_gt_u32_e32 vcc, s13, v11
	s_and_saveexec_b64 s[2:3], vcc
	s_cbranch_execz .LBB8_50
; %bb.49:
	ds_read_u8 v1, v18
	s_waitcnt lgkmcnt(0)
	global_store_byte v12, v1, s[10:11]
.LBB8_50:
	s_or_b64 exec, exec, s[2:3]
	v_or_b32_e32 v1, 1, v11
	v_cmp_gt_u32_e32 vcc, s13, v1
	s_and_saveexec_b64 s[2:3], vcc
	s_cbranch_execz .LBB8_52
; %bb.51:
	ds_read_u8 v1, v19
	s_waitcnt lgkmcnt(0)
	global_store_byte v12, v1, s[10:11] offset:1
.LBB8_52:
	s_or_b64 exec, exec, s[2:3]
	v_or_b32_e32 v1, 2, v11
	v_cmp_gt_u32_e32 vcc, s13, v1
	s_and_saveexec_b64 s[2:3], vcc
	s_cbranch_execz .LBB8_54
; %bb.53:
	ds_read_u8 v1, v21
	s_waitcnt lgkmcnt(0)
	global_store_byte v12, v1, s[10:11] offset:2
.LBB8_54:
	s_or_b64 exec, exec, s[2:3]
	v_or_b32_e32 v1, 3, v11
	v_cmp_gt_u32_e32 vcc, s13, v1
	s_and_saveexec_b64 s[2:3], vcc
; %bb.55:
	v_mov_b32_e32 v13, 0
	s_or_b64 s[0:1], s[0:1], exec
; %bb.56:
	s_or_b64 exec, exec, s[2:3]
.LBB8_57:
	s_and_saveexec_b64 s[2:3], s[0:1]
	s_cbranch_execz .LBB8_59
; %bb.58:
	ds_read_u8 v1, v20
	v_lshl_add_u64 v[12:13], s[10:11], 0, v[12:13]
	s_waitcnt lgkmcnt(0)
	global_store_byte v[12:13], v1, off offset:3
.LBB8_59:
	s_or_b64 exec, exec, s[2:3]
	v_and_b32_e32 v1, 0xf8, v0
	v_lshl_add_u32 v1, v11, 3, v1
	s_barrier
	s_barrier
	ds_write2_b64 v1, v[2:3], v[4:5] offset1:1
	ds_write2_b64 v1, v[6:7], v[8:9] offset0:2 offset1:3
	v_lshrrev_b32_e32 v1, 2, v0
	v_and_b32_e32 v1, 56, v1
	v_or_b32_e32 v12, 0x100, v0
	v_add_u32_e32 v13, v10, v1
	v_lshrrev_b32_e32 v1, 2, v12
	v_and_b32_e32 v1, 0x78, v1
	v_or_b32_e32 v11, 0x200, v0
	v_add_u32_e32 v6, v10, v1
	v_lshrrev_b32_e32 v1, 2, v11
	v_and_b32_e32 v1, 0xb8, v1
	s_mov_b32 s15, 0
	v_add_u32_e32 v7, v10, v1
	v_or_b32_e32 v1, 0x300, v0
	s_lshl_b64 s[0:1], s[14:15], 3
	v_lshrrev_b32_e32 v2, 2, v1
	s_add_u32 s0, s6, s0
	v_and_b32_e32 v2, 0xf8, v2
	s_addc_u32 s1, s7, s1
	v_add_u32_e32 v10, v10, v2
	v_lshlrev_b32_e32 v2, 3, v0
	v_mov_b32_e32 v3, 0
	v_lshl_add_u64 v[2:3], s[0:1], 0, v[2:3]
	s_and_b64 vcc, exec, s[20:21]
	s_waitcnt lgkmcnt(0)
	s_cbranch_vccz .LBB8_61
; %bb.60:
	s_barrier
	ds_read_b64 v[8:9], v13
	ds_read_b64 v[14:15], v6 offset:2048
	ds_read_b64 v[16:17], v7 offset:4096
	;; [unrolled: 1-line block ×3, first 2 shown]
	s_waitcnt lgkmcnt(3)
	global_store_dwordx2 v[2:3], v[8:9], off
	s_waitcnt lgkmcnt(2)
	global_store_dwordx2 v[2:3], v[14:15], off offset:2048
	v_add_co_u32_e32 v8, vcc, 0x1000, v2
	s_nop 1
	v_addc_co_u32_e32 v9, vcc, 0, v3, vcc
	s_waitcnt lgkmcnt(1)
	global_store_dwordx2 v[8:9], v[16:17], off
	s_mov_b64 s[0:1], -1
	s_cbranch_execz .LBB8_62
	s_branch .LBB8_67
.LBB8_61:
	s_mov_b64 s[0:1], 0
                                        ; implicit-def: $vgpr4_vgpr5
.LBB8_62:
	s_barrier
	s_waitcnt lgkmcnt(0)
	ds_read_b64 v[8:9], v6 offset:2048
	ds_read_b64 v[6:7], v7 offset:4096
	;; [unrolled: 1-line block ×3, first 2 shown]
	s_sub_i32 s2, s12, s14
	v_cmp_gt_u32_e32 vcc, s2, v0
	s_and_saveexec_b64 s[0:1], vcc
	s_cbranch_execnz .LBB8_76
; %bb.63:
	s_or_b64 exec, exec, s[0:1]
	v_cmp_gt_u32_e32 vcc, s2, v12
	s_and_saveexec_b64 s[0:1], vcc
	s_cbranch_execnz .LBB8_77
.LBB8_64:
	s_or_b64 exec, exec, s[0:1]
	v_cmp_gt_u32_e32 vcc, s2, v11
	s_and_saveexec_b64 s[0:1], vcc
	s_cbranch_execz .LBB8_66
.LBB8_65:
	s_waitcnt lgkmcnt(2)
	v_add_co_u32_e32 v8, vcc, 0x1000, v2
	s_nop 1
	v_addc_co_u32_e32 v9, vcc, 0, v3, vcc
	s_waitcnt lgkmcnt(1)
	global_store_dwordx2 v[8:9], v[6:7], off
.LBB8_66:
	s_or_b64 exec, exec, s[0:1]
	v_cmp_gt_u32_e64 s[0:1], s2, v1
.LBB8_67:
	s_and_saveexec_b64 s[2:3], s[0:1]
	s_cbranch_execz .LBB8_69
; %bb.68:
	v_add_co_u32_e32 v0, vcc, 0x1000, v2
	s_nop 1
	v_addc_co_u32_e32 v1, vcc, 0, v3, vcc
	s_waitcnt lgkmcnt(0)
	global_store_dwordx2 v[0:1], v[4:5], off offset:2048
.LBB8_69:
	s_endpgm
.LBB8_70:
	v_mov_b32_e32 v11, 0
	s_waitcnt vmcnt(2)
	v_subrev_u32_e32 v4, s15, v0
	v_mov_b32_e32 v5, v11
	v_lshl_add_u64 v[2:3], s[0:1], 0, v[10:11]
	v_lshl_add_u64 v[4:5], v[4:5], 3, s[4:5]
	v_cmp_gt_u32_e32 vcc, s15, v0
	s_nop 1
	v_cndmask_b32_e32 v3, v5, v3, vcc
	v_cndmask_b32_e32 v2, v4, v2, vcc
	global_load_dwordx2 v[2:3], v[2:3], off
	s_or_b64 exec, exec, s[2:3]
	v_cmp_gt_u32_e32 vcc, s13, v14
	s_and_saveexec_b64 s[2:3], vcc
	s_cbranch_execz .LBB8_6
.LBB8_71:
	v_mov_b32_e32 v15, 0
	s_waitcnt vmcnt(2)
	v_lshl_add_u64 v[4:5], v[14:15], 3, s[0:1]
	v_cmp_gt_u32_e32 vcc, s15, v14
	v_subrev_u32_e32 v14, s15, v14
	v_lshl_add_u64 v[14:15], v[14:15], 3, s[4:5]
	v_cndmask_b32_e32 v5, v15, v5, vcc
	v_cndmask_b32_e32 v4, v14, v4, vcc
	global_load_dwordx2 v[4:5], v[4:5], off
	s_or_b64 exec, exec, s[2:3]
	v_cmp_gt_u32_e32 vcc, s13, v12
	s_and_saveexec_b64 s[2:3], vcc
	s_cbranch_execnz .LBB8_7
	s_branch .LBB8_8
.LBB8_72:
	v_subrev_u32_e32 v16, s15, v0
	v_cmp_gt_u32_e32 vcc, s29, v16
                                        ; implicit-def: $vgpr14_vgpr15
	s_and_saveexec_b64 s[26:27], vcc
	s_xor_b64 s[26:27], exec, s[26:27]
; %bb.73:
	v_mov_b32_e32 v17, 0
	s_mov_b64 s[24:25], exec
	v_lshl_add_u64 v[14:15], s[16:17], 0, v[16:17]
; %bb.74:
	s_or_b64 exec, exec, s[26:27]
	s_and_b64 s[24:25], s[24:25], exec
	s_andn2_saveexec_b64 s[2:3], s[2:3]
	s_cbranch_execz .LBB8_26
.LBB8_75:
	s_or_b64 s[24:25], s[24:25], exec
	v_mov_b64_e32 v[14:15], v[12:13]
	s_or_b64 exec, exec, s[2:3]
	s_and_saveexec_b64 s[2:3], s[24:25]
	s_cbranch_execnz .LBB8_27
	s_branch .LBB8_28
.LBB8_76:
	ds_read_b64 v[14:15], v13
	s_waitcnt lgkmcnt(0)
	global_store_dwordx2 v[2:3], v[14:15], off
	s_or_b64 exec, exec, s[0:1]
	v_cmp_gt_u32_e32 vcc, s2, v12
	s_and_saveexec_b64 s[0:1], vcc
	s_cbranch_execz .LBB8_64
.LBB8_77:
	s_waitcnt lgkmcnt(2)
	global_store_dwordx2 v[2:3], v[8:9], off offset:2048
	s_or_b64 exec, exec, s[0:1]
	v_cmp_gt_u32_e32 vcc, s2, v11
	s_and_saveexec_b64 s[0:1], vcc
	s_cbranch_execnz .LBB8_65
	s_branch .LBB8_66
	.section	.rodata,"a",@progbits
	.p2align	6, 0x0
	.amdhsa_kernel _ZN7rocprim17ROCPRIM_304000_NS6detail35device_block_merge_mergepath_kernelINS1_37wrapped_merge_sort_block_merge_configINS0_14default_configElN2at4cuda3cub6detail10OpaqueTypeILi1EEEEEPlSC_PSA_SD_jNS1_19radix_merge_compareILb1ELb1ElNS0_19identity_decomposerEEEEEvT0_T1_T2_T3_T4_SL_jT5_PKSL_NS1_7vsmem_tE
		.amdhsa_group_segment_fixed_size 8448
		.amdhsa_private_segment_fixed_size 0
		.amdhsa_kernarg_size 328
		.amdhsa_user_sgpr_count 2
		.amdhsa_user_sgpr_dispatch_ptr 0
		.amdhsa_user_sgpr_queue_ptr 0
		.amdhsa_user_sgpr_kernarg_segment_ptr 1
		.amdhsa_user_sgpr_dispatch_id 0
		.amdhsa_user_sgpr_kernarg_preload_length 0
		.amdhsa_user_sgpr_kernarg_preload_offset 0
		.amdhsa_user_sgpr_private_segment_size 0
		.amdhsa_uses_dynamic_stack 0
		.amdhsa_enable_private_segment 0
		.amdhsa_system_sgpr_workgroup_id_x 1
		.amdhsa_system_sgpr_workgroup_id_y 1
		.amdhsa_system_sgpr_workgroup_id_z 1
		.amdhsa_system_sgpr_workgroup_info 0
		.amdhsa_system_vgpr_workitem_id 0
		.amdhsa_next_free_vgpr 27
		.amdhsa_next_free_sgpr 34
		.amdhsa_accum_offset 28
		.amdhsa_reserve_vcc 1
		.amdhsa_float_round_mode_32 0
		.amdhsa_float_round_mode_16_64 0
		.amdhsa_float_denorm_mode_32 3
		.amdhsa_float_denorm_mode_16_64 3
		.amdhsa_dx10_clamp 1
		.amdhsa_ieee_mode 1
		.amdhsa_fp16_overflow 0
		.amdhsa_tg_split 0
		.amdhsa_exception_fp_ieee_invalid_op 0
		.amdhsa_exception_fp_denorm_src 0
		.amdhsa_exception_fp_ieee_div_zero 0
		.amdhsa_exception_fp_ieee_overflow 0
		.amdhsa_exception_fp_ieee_underflow 0
		.amdhsa_exception_fp_ieee_inexact 0
		.amdhsa_exception_int_div_zero 0
	.end_amdhsa_kernel
	.section	.text._ZN7rocprim17ROCPRIM_304000_NS6detail35device_block_merge_mergepath_kernelINS1_37wrapped_merge_sort_block_merge_configINS0_14default_configElN2at4cuda3cub6detail10OpaqueTypeILi1EEEEEPlSC_PSA_SD_jNS1_19radix_merge_compareILb1ELb1ElNS0_19identity_decomposerEEEEEvT0_T1_T2_T3_T4_SL_jT5_PKSL_NS1_7vsmem_tE,"axG",@progbits,_ZN7rocprim17ROCPRIM_304000_NS6detail35device_block_merge_mergepath_kernelINS1_37wrapped_merge_sort_block_merge_configINS0_14default_configElN2at4cuda3cub6detail10OpaqueTypeILi1EEEEEPlSC_PSA_SD_jNS1_19radix_merge_compareILb1ELb1ElNS0_19identity_decomposerEEEEEvT0_T1_T2_T3_T4_SL_jT5_PKSL_NS1_7vsmem_tE,comdat
.Lfunc_end8:
	.size	_ZN7rocprim17ROCPRIM_304000_NS6detail35device_block_merge_mergepath_kernelINS1_37wrapped_merge_sort_block_merge_configINS0_14default_configElN2at4cuda3cub6detail10OpaqueTypeILi1EEEEEPlSC_PSA_SD_jNS1_19radix_merge_compareILb1ELb1ElNS0_19identity_decomposerEEEEEvT0_T1_T2_T3_T4_SL_jT5_PKSL_NS1_7vsmem_tE, .Lfunc_end8-_ZN7rocprim17ROCPRIM_304000_NS6detail35device_block_merge_mergepath_kernelINS1_37wrapped_merge_sort_block_merge_configINS0_14default_configElN2at4cuda3cub6detail10OpaqueTypeILi1EEEEEPlSC_PSA_SD_jNS1_19radix_merge_compareILb1ELb1ElNS0_19identity_decomposerEEEEEvT0_T1_T2_T3_T4_SL_jT5_PKSL_NS1_7vsmem_tE
                                        ; -- End function
	.section	.AMDGPU.csdata,"",@progbits
; Kernel info:
; codeLenInByte = 3188
; NumSgprs: 40
; NumVgprs: 27
; NumAgprs: 0
; TotalNumVgprs: 27
; ScratchSize: 0
; MemoryBound: 0
; FloatMode: 240
; IeeeMode: 1
; LDSByteSize: 8448 bytes/workgroup (compile time only)
; SGPRBlocks: 4
; VGPRBlocks: 3
; NumSGPRsForWavesPerEU: 40
; NumVGPRsForWavesPerEU: 27
; AccumOffset: 28
; Occupancy: 7
; WaveLimiterHint : 1
; COMPUTE_PGM_RSRC2:SCRATCH_EN: 0
; COMPUTE_PGM_RSRC2:USER_SGPR: 2
; COMPUTE_PGM_RSRC2:TRAP_HANDLER: 0
; COMPUTE_PGM_RSRC2:TGID_X_EN: 1
; COMPUTE_PGM_RSRC2:TGID_Y_EN: 1
; COMPUTE_PGM_RSRC2:TGID_Z_EN: 1
; COMPUTE_PGM_RSRC2:TIDIG_COMP_CNT: 0
; COMPUTE_PGM_RSRC3_GFX90A:ACCUM_OFFSET: 6
; COMPUTE_PGM_RSRC3_GFX90A:TG_SPLIT: 0
	.section	.text._ZN7rocprim17ROCPRIM_304000_NS6detail33device_block_merge_oddeven_kernelINS1_37wrapped_merge_sort_block_merge_configINS0_14default_configElN2at4cuda3cub6detail10OpaqueTypeILi1EEEEEPlSC_PSA_SD_jNS1_19radix_merge_compareILb1ELb1ElNS0_19identity_decomposerEEEEEvT0_T1_T2_T3_T4_SL_T5_,"axG",@progbits,_ZN7rocprim17ROCPRIM_304000_NS6detail33device_block_merge_oddeven_kernelINS1_37wrapped_merge_sort_block_merge_configINS0_14default_configElN2at4cuda3cub6detail10OpaqueTypeILi1EEEEEPlSC_PSA_SD_jNS1_19radix_merge_compareILb1ELb1ElNS0_19identity_decomposerEEEEEvT0_T1_T2_T3_T4_SL_T5_,comdat
	.protected	_ZN7rocprim17ROCPRIM_304000_NS6detail33device_block_merge_oddeven_kernelINS1_37wrapped_merge_sort_block_merge_configINS0_14default_configElN2at4cuda3cub6detail10OpaqueTypeILi1EEEEEPlSC_PSA_SD_jNS1_19radix_merge_compareILb1ELb1ElNS0_19identity_decomposerEEEEEvT0_T1_T2_T3_T4_SL_T5_ ; -- Begin function _ZN7rocprim17ROCPRIM_304000_NS6detail33device_block_merge_oddeven_kernelINS1_37wrapped_merge_sort_block_merge_configINS0_14default_configElN2at4cuda3cub6detail10OpaqueTypeILi1EEEEEPlSC_PSA_SD_jNS1_19radix_merge_compareILb1ELb1ElNS0_19identity_decomposerEEEEEvT0_T1_T2_T3_T4_SL_T5_
	.globl	_ZN7rocprim17ROCPRIM_304000_NS6detail33device_block_merge_oddeven_kernelINS1_37wrapped_merge_sort_block_merge_configINS0_14default_configElN2at4cuda3cub6detail10OpaqueTypeILi1EEEEEPlSC_PSA_SD_jNS1_19radix_merge_compareILb1ELb1ElNS0_19identity_decomposerEEEEEvT0_T1_T2_T3_T4_SL_T5_
	.p2align	8
	.type	_ZN7rocprim17ROCPRIM_304000_NS6detail33device_block_merge_oddeven_kernelINS1_37wrapped_merge_sort_block_merge_configINS0_14default_configElN2at4cuda3cub6detail10OpaqueTypeILi1EEEEEPlSC_PSA_SD_jNS1_19radix_merge_compareILb1ELb1ElNS0_19identity_decomposerEEEEEvT0_T1_T2_T3_T4_SL_T5_,@function
_ZN7rocprim17ROCPRIM_304000_NS6detail33device_block_merge_oddeven_kernelINS1_37wrapped_merge_sort_block_merge_configINS0_14default_configElN2at4cuda3cub6detail10OpaqueTypeILi1EEEEEPlSC_PSA_SD_jNS1_19radix_merge_compareILb1ELb1ElNS0_19identity_decomposerEEEEEvT0_T1_T2_T3_T4_SL_T5_: ; @_ZN7rocprim17ROCPRIM_304000_NS6detail33device_block_merge_oddeven_kernelINS1_37wrapped_merge_sort_block_merge_configINS0_14default_configElN2at4cuda3cub6detail10OpaqueTypeILi1EEEEEPlSC_PSA_SD_jNS1_19radix_merge_compareILb1ELb1ElNS0_19identity_decomposerEEEEEvT0_T1_T2_T3_T4_SL_T5_
; %bb.0:
	s_load_dwordx2 s[18:19], s[0:1], 0x20
	s_waitcnt lgkmcnt(0)
	s_lshr_b32 s3, s18, 8
	s_cmp_lg_u32 s2, s3
	s_cselect_b64 s[4:5], -1, 0
	s_cmp_eq_u32 s2, s3
	s_cselect_b64 s[16:17], -1, 0
	s_lshl_b32 s20, s2, 8
	s_sub_i32 s3, s18, s20
	v_cmp_gt_u32_e64 s[6:7], s3, v0
	s_or_b64 s[4:5], s[4:5], s[6:7]
	s_and_saveexec_b64 s[8:9], s[4:5]
	s_cbranch_execz .LBB9_26
; %bb.1:
	s_load_dwordx8 s[8:15], s[0:1], 0x0
	s_mov_b32 s21, 0
	s_lshl_b64 s[4:5], s[20:21], 3
	v_lshlrev_b32_e32 v1, 3, v0
	v_add_u32_e32 v4, s20, v0
	s_waitcnt lgkmcnt(0)
	s_add_u32 s4, s8, s4
	s_addc_u32 s5, s9, s5
	s_add_u32 s12, s12, s20
	s_addc_u32 s13, s13, 0
	global_load_ubyte v6, v0, s[12:13]
	global_load_dwordx2 v[2:3], v1, s[4:5]
	s_lshr_b32 s3, s19, 8
	s_sub_i32 s4, 0, s3
	s_and_b32 s2, s2, s4
	s_and_b32 s3, s2, s3
	s_lshl_b32 s23, s2, 8
	s_sub_i32 s12, 0, s19
	s_cmp_eq_u32 s3, 0
	s_cselect_b64 s[4:5], -1, 0
	s_and_b64 s[2:3], s[4:5], exec
	s_cselect_b32 s22, s19, s12
	s_add_i32 s22, s22, s23
	s_cmp_lt_u32 s22, s18
	s_cbranch_scc1 .LBB9_6
; %bb.2:
	s_and_b64 vcc, exec, s[16:17]
	s_cbranch_vccz .LBB9_7
; %bb.3:
	v_cmp_gt_u32_e32 vcc, s18, v4
	s_mov_b64 s[12:13], 0
	s_mov_b64 s[2:3], 0
                                        ; implicit-def: $vgpr0_vgpr1
	s_and_saveexec_b64 s[20:21], vcc
	s_cbranch_execz .LBB9_5
; %bb.4:
	v_mov_b32_e32 v5, 0
	s_mov_b64 s[2:3], exec
	v_lshl_add_u64 v[0:1], s[14:15], 0, v[4:5]
	v_lshl_add_u64 v[8:9], v[4:5], 3, s[10:11]
	s_waitcnt vmcnt(0)
	global_store_dwordx2 v[8:9], v[2:3], off
.LBB9_5:
	s_or_b64 exec, exec, s[20:21]
	s_and_b64 vcc, exec, s[12:13]
	s_cbranch_vccnz .LBB9_8
	s_branch .LBB9_9
.LBB9_6:
	s_mov_b64 s[2:3], 0
                                        ; implicit-def: $vgpr0_vgpr1
	s_cbranch_execnz .LBB9_10
	s_branch .LBB9_24
.LBB9_7:
	s_mov_b64 s[2:3], 0
                                        ; implicit-def: $vgpr0_vgpr1
	s_cbranch_execz .LBB9_9
.LBB9_8:
	v_mov_b32_e32 v5, 0
	v_lshl_add_u64 v[0:1], v[4:5], 3, s[10:11]
	s_waitcnt vmcnt(0)
	global_store_dwordx2 v[0:1], v[2:3], off
	v_lshl_add_u64 v[0:1], s[14:15], 0, v[4:5]
	s_or_b64 s[2:3], s[2:3], exec
.LBB9_9:
	s_branch .LBB9_24
.LBB9_10:
	s_min_u32 s20, s22, s18
	s_load_dwordx2 s[0:1], s[0:1], 0x28
	s_add_i32 s12, s20, s19
	s_min_u32 s18, s12, s18
	s_min_u32 s12, s23, s20
	s_add_i32 s23, s23, s20
	v_subrev_u32_e32 v0, s23, v4
	v_add_u32_e32 v7, s12, v0
	s_and_b64 vcc, exec, s[16:17]
	s_cbranch_vccz .LBB9_18
; %bb.11:
                                        ; implicit-def: $vgpr0_vgpr1
	s_and_saveexec_b64 s[12:13], s[6:7]
	s_cbranch_execz .LBB9_17
; %bb.12:
	s_cmp_ge_u32 s22, s18
	v_mov_b32_e32 v8, s20
	s_cbranch_scc1 .LBB9_16
; %bb.13:
	s_waitcnt vmcnt(0) lgkmcnt(0)
	v_and_b32_e32 v1, s1, v3
	v_and_b32_e32 v0, s0, v2
	s_mov_b64 s[6:7], 0
	v_mov_b32_e32 v9, s18
	v_mov_b32_e32 v8, s20
	;; [unrolled: 1-line block ×3, first 2 shown]
.LBB9_14:                               ; =>This Inner Loop Header: Depth=1
	v_add_u32_e32 v4, v8, v9
	v_lshrrev_b32_e32 v4, 1, v4
	v_lshl_add_u64 v[10:11], v[4:5], 3, s[8:9]
	global_load_dwordx2 v[10:11], v[10:11], off
	v_add_u32_e32 v12, 1, v4
	s_waitcnt vmcnt(0)
	v_and_b32_e32 v11, s1, v11
	v_and_b32_e32 v10, s0, v10
	v_cmp_gt_i64_e32 vcc, v[10:11], v[0:1]
	s_nop 1
	v_cndmask_b32_e64 v13, 0, 1, vcc
	v_cmp_le_i64_e32 vcc, v[0:1], v[10:11]
	s_nop 1
	v_cndmask_b32_e64 v10, 0, 1, vcc
	v_cndmask_b32_e64 v10, v10, v13, s[4:5]
	v_and_b32_e32 v10, 1, v10
	v_cmp_eq_u32_e32 vcc, 1, v10
	s_nop 1
	v_cndmask_b32_e32 v9, v4, v9, vcc
	v_cndmask_b32_e32 v8, v8, v12, vcc
	v_cmp_ge_u32_e32 vcc, v8, v9
	s_or_b64 s[6:7], vcc, s[6:7]
	s_andn2_b64 exec, exec, s[6:7]
	s_cbranch_execnz .LBB9_14
; %bb.15:
	s_or_b64 exec, exec, s[6:7]
.LBB9_16:
	v_add_u32_e32 v0, v8, v7
	v_mov_b32_e32 v1, 0
	v_lshl_add_u64 v[4:5], v[0:1], 3, s[10:11]
	s_waitcnt vmcnt(0)
	global_store_dwordx2 v[4:5], v[2:3], off
	v_lshl_add_u64 v[0:1], s[14:15], 0, v[0:1]
	s_or_b64 s[2:3], s[2:3], exec
.LBB9_17:
	s_or_b64 exec, exec, s[12:13]
	s_branch .LBB9_24
.LBB9_18:
                                        ; implicit-def: $vgpr0_vgpr1
	s_cbranch_execz .LBB9_24
; %bb.19:
	s_cmp_ge_u32 s22, s18
	v_mov_b32_e32 v8, s20
	s_cbranch_scc1 .LBB9_23
; %bb.20:
	s_waitcnt vmcnt(0) lgkmcnt(0)
	v_and_b32_e32 v1, s1, v3
	v_and_b32_e32 v0, s0, v2
	s_mov_b64 s[2:3], 0
	v_mov_b32_e32 v9, s18
	v_mov_b32_e32 v8, s20
	;; [unrolled: 1-line block ×3, first 2 shown]
.LBB9_21:                               ; =>This Inner Loop Header: Depth=1
	v_add_u32_e32 v4, v8, v9
	v_lshrrev_b32_e32 v4, 1, v4
	v_lshl_add_u64 v[10:11], v[4:5], 3, s[8:9]
	global_load_dwordx2 v[10:11], v[10:11], off
	v_add_u32_e32 v12, 1, v4
	s_waitcnt vmcnt(0)
	v_and_b32_e32 v11, s1, v11
	v_and_b32_e32 v10, s0, v10
	v_cmp_gt_i64_e32 vcc, v[10:11], v[0:1]
	s_nop 1
	v_cndmask_b32_e64 v13, 0, 1, vcc
	v_cmp_le_i64_e32 vcc, v[0:1], v[10:11]
	s_nop 1
	v_cndmask_b32_e64 v10, 0, 1, vcc
	v_cndmask_b32_e64 v10, v10, v13, s[4:5]
	v_and_b32_e32 v10, 1, v10
	v_cmp_eq_u32_e32 vcc, 1, v10
	s_nop 1
	v_cndmask_b32_e32 v9, v4, v9, vcc
	v_cndmask_b32_e32 v8, v8, v12, vcc
	v_cmp_ge_u32_e32 vcc, v8, v9
	s_or_b64 s[2:3], vcc, s[2:3]
	s_andn2_b64 exec, exec, s[2:3]
	s_cbranch_execnz .LBB9_21
; %bb.22:
	s_or_b64 exec, exec, s[2:3]
.LBB9_23:
	v_add_u32_e32 v0, v8, v7
	v_mov_b32_e32 v1, 0
	v_lshl_add_u64 v[4:5], v[0:1], 3, s[10:11]
	v_lshl_add_u64 v[0:1], s[14:15], 0, v[0:1]
	s_mov_b64 s[2:3], -1
	s_waitcnt vmcnt(0)
	global_store_dwordx2 v[4:5], v[2:3], off
.LBB9_24:
	s_and_b64 exec, exec, s[2:3]
	s_cbranch_execz .LBB9_26
; %bb.25:
	s_waitcnt vmcnt(1)
	global_store_byte v[0:1], v6, off
.LBB9_26:
	s_endpgm
	.section	.rodata,"a",@progbits
	.p2align	6, 0x0
	.amdhsa_kernel _ZN7rocprim17ROCPRIM_304000_NS6detail33device_block_merge_oddeven_kernelINS1_37wrapped_merge_sort_block_merge_configINS0_14default_configElN2at4cuda3cub6detail10OpaqueTypeILi1EEEEEPlSC_PSA_SD_jNS1_19radix_merge_compareILb1ELb1ElNS0_19identity_decomposerEEEEEvT0_T1_T2_T3_T4_SL_T5_
		.amdhsa_group_segment_fixed_size 0
		.amdhsa_private_segment_fixed_size 0
		.amdhsa_kernarg_size 48
		.amdhsa_user_sgpr_count 2
		.amdhsa_user_sgpr_dispatch_ptr 0
		.amdhsa_user_sgpr_queue_ptr 0
		.amdhsa_user_sgpr_kernarg_segment_ptr 1
		.amdhsa_user_sgpr_dispatch_id 0
		.amdhsa_user_sgpr_kernarg_preload_length 0
		.amdhsa_user_sgpr_kernarg_preload_offset 0
		.amdhsa_user_sgpr_private_segment_size 0
		.amdhsa_uses_dynamic_stack 0
		.amdhsa_enable_private_segment 0
		.amdhsa_system_sgpr_workgroup_id_x 1
		.amdhsa_system_sgpr_workgroup_id_y 0
		.amdhsa_system_sgpr_workgroup_id_z 0
		.amdhsa_system_sgpr_workgroup_info 0
		.amdhsa_system_vgpr_workitem_id 0
		.amdhsa_next_free_vgpr 14
		.amdhsa_next_free_sgpr 24
		.amdhsa_accum_offset 16
		.amdhsa_reserve_vcc 1
		.amdhsa_float_round_mode_32 0
		.amdhsa_float_round_mode_16_64 0
		.amdhsa_float_denorm_mode_32 3
		.amdhsa_float_denorm_mode_16_64 3
		.amdhsa_dx10_clamp 1
		.amdhsa_ieee_mode 1
		.amdhsa_fp16_overflow 0
		.amdhsa_tg_split 0
		.amdhsa_exception_fp_ieee_invalid_op 0
		.amdhsa_exception_fp_denorm_src 0
		.amdhsa_exception_fp_ieee_div_zero 0
		.amdhsa_exception_fp_ieee_overflow 0
		.amdhsa_exception_fp_ieee_underflow 0
		.amdhsa_exception_fp_ieee_inexact 0
		.amdhsa_exception_int_div_zero 0
	.end_amdhsa_kernel
	.section	.text._ZN7rocprim17ROCPRIM_304000_NS6detail33device_block_merge_oddeven_kernelINS1_37wrapped_merge_sort_block_merge_configINS0_14default_configElN2at4cuda3cub6detail10OpaqueTypeILi1EEEEEPlSC_PSA_SD_jNS1_19radix_merge_compareILb1ELb1ElNS0_19identity_decomposerEEEEEvT0_T1_T2_T3_T4_SL_T5_,"axG",@progbits,_ZN7rocprim17ROCPRIM_304000_NS6detail33device_block_merge_oddeven_kernelINS1_37wrapped_merge_sort_block_merge_configINS0_14default_configElN2at4cuda3cub6detail10OpaqueTypeILi1EEEEEPlSC_PSA_SD_jNS1_19radix_merge_compareILb1ELb1ElNS0_19identity_decomposerEEEEEvT0_T1_T2_T3_T4_SL_T5_,comdat
.Lfunc_end9:
	.size	_ZN7rocprim17ROCPRIM_304000_NS6detail33device_block_merge_oddeven_kernelINS1_37wrapped_merge_sort_block_merge_configINS0_14default_configElN2at4cuda3cub6detail10OpaqueTypeILi1EEEEEPlSC_PSA_SD_jNS1_19radix_merge_compareILb1ELb1ElNS0_19identity_decomposerEEEEEvT0_T1_T2_T3_T4_SL_T5_, .Lfunc_end9-_ZN7rocprim17ROCPRIM_304000_NS6detail33device_block_merge_oddeven_kernelINS1_37wrapped_merge_sort_block_merge_configINS0_14default_configElN2at4cuda3cub6detail10OpaqueTypeILi1EEEEEPlSC_PSA_SD_jNS1_19radix_merge_compareILb1ELb1ElNS0_19identity_decomposerEEEEEvT0_T1_T2_T3_T4_SL_T5_
                                        ; -- End function
	.section	.AMDGPU.csdata,"",@progbits
; Kernel info:
; codeLenInByte = 800
; NumSgprs: 30
; NumVgprs: 14
; NumAgprs: 0
; TotalNumVgprs: 14
; ScratchSize: 0
; MemoryBound: 0
; FloatMode: 240
; IeeeMode: 1
; LDSByteSize: 0 bytes/workgroup (compile time only)
; SGPRBlocks: 3
; VGPRBlocks: 1
; NumSGPRsForWavesPerEU: 30
; NumVGPRsForWavesPerEU: 14
; AccumOffset: 16
; Occupancy: 8
; WaveLimiterHint : 0
; COMPUTE_PGM_RSRC2:SCRATCH_EN: 0
; COMPUTE_PGM_RSRC2:USER_SGPR: 2
; COMPUTE_PGM_RSRC2:TRAP_HANDLER: 0
; COMPUTE_PGM_RSRC2:TGID_X_EN: 1
; COMPUTE_PGM_RSRC2:TGID_Y_EN: 0
; COMPUTE_PGM_RSRC2:TGID_Z_EN: 0
; COMPUTE_PGM_RSRC2:TIDIG_COMP_CNT: 0
; COMPUTE_PGM_RSRC3_GFX90A:ACCUM_OFFSET: 3
; COMPUTE_PGM_RSRC3_GFX90A:TG_SPLIT: 0
	.section	.text._ZN7rocprim17ROCPRIM_304000_NS6detail26onesweep_histograms_kernelINS1_34wrapped_radix_sort_onesweep_configINS0_14default_configElN2at4cuda3cub6detail10OpaqueTypeILi1EEEEELb1EPKlmNS0_19identity_decomposerEEEvT1_PT2_SG_SG_T3_jj,"axG",@progbits,_ZN7rocprim17ROCPRIM_304000_NS6detail26onesweep_histograms_kernelINS1_34wrapped_radix_sort_onesweep_configINS0_14default_configElN2at4cuda3cub6detail10OpaqueTypeILi1EEEEELb1EPKlmNS0_19identity_decomposerEEEvT1_PT2_SG_SG_T3_jj,comdat
	.protected	_ZN7rocprim17ROCPRIM_304000_NS6detail26onesweep_histograms_kernelINS1_34wrapped_radix_sort_onesweep_configINS0_14default_configElN2at4cuda3cub6detail10OpaqueTypeILi1EEEEELb1EPKlmNS0_19identity_decomposerEEEvT1_PT2_SG_SG_T3_jj ; -- Begin function _ZN7rocprim17ROCPRIM_304000_NS6detail26onesweep_histograms_kernelINS1_34wrapped_radix_sort_onesweep_configINS0_14default_configElN2at4cuda3cub6detail10OpaqueTypeILi1EEEEELb1EPKlmNS0_19identity_decomposerEEEvT1_PT2_SG_SG_T3_jj
	.globl	_ZN7rocprim17ROCPRIM_304000_NS6detail26onesweep_histograms_kernelINS1_34wrapped_radix_sort_onesweep_configINS0_14default_configElN2at4cuda3cub6detail10OpaqueTypeILi1EEEEELb1EPKlmNS0_19identity_decomposerEEEvT1_PT2_SG_SG_T3_jj
	.p2align	8
	.type	_ZN7rocprim17ROCPRIM_304000_NS6detail26onesweep_histograms_kernelINS1_34wrapped_radix_sort_onesweep_configINS0_14default_configElN2at4cuda3cub6detail10OpaqueTypeILi1EEEEELb1EPKlmNS0_19identity_decomposerEEEvT1_PT2_SG_SG_T3_jj,@function
_ZN7rocprim17ROCPRIM_304000_NS6detail26onesweep_histograms_kernelINS1_34wrapped_radix_sort_onesweep_configINS0_14default_configElN2at4cuda3cub6detail10OpaqueTypeILi1EEEEELb1EPKlmNS0_19identity_decomposerEEEvT1_PT2_SG_SG_T3_jj: ; @_ZN7rocprim17ROCPRIM_304000_NS6detail26onesweep_histograms_kernelINS1_34wrapped_radix_sort_onesweep_configINS0_14default_configElN2at4cuda3cub6detail10OpaqueTypeILi1EEEEELb1EPKlmNS0_19identity_decomposerEEEvT1_PT2_SG_SG_T3_jj
; %bb.0:
	s_load_dwordx8 s[64:71], s[0:1], 0x0
	s_load_dwordx2 s[72:73], s[0:1], 0x24
	s_mov_b32 s3, 0
	s_lshl_b64 s[0:1], s[2:3], 18
	s_waitcnt lgkmcnt(0)
	v_mov_b64_e32 v[2:3], s[70:71]
	v_cmp_ge_u64_e32 vcc, s[2:3], v[2:3]
	s_add_u32 s74, s64, s0
	s_addc_u32 s75, s65, s1
	s_mov_b64 s[0:1], -1
	v_lshlrev_b32_e32 v2, 3, v0
	s_cbranch_vccz .LBB10_200
; %bb.1:
	s_lshl_b32 s0, s70, 15
	s_sub_i32 s33, s68, s0
	v_mov_b32_e32 v3, 0
	v_lshl_add_u64 v[68:69], s[74:75], 0, v[2:3]
	v_cmp_gt_u32_e64 s[64:65], s33, v0
                                        ; implicit-def: $vgpr66_vgpr67
	s_and_saveexec_b64 s[0:1], s[64:65]
	s_cbranch_execz .LBB10_3
; %bb.2:
	global_load_dwordx2 v[66:67], v[68:69], off
.LBB10_3:
	s_or_b64 exec, exec, s[0:1]
	v_or_b32_e32 v1, 0x400, v0
	v_cmp_gt_u32_e64 s[62:63], s33, v1
                                        ; implicit-def: $vgpr64_vgpr65
	s_and_saveexec_b64 s[0:1], s[62:63]
	s_cbranch_execz .LBB10_5
; %bb.4:
	v_add_co_u32_e32 v4, vcc, 0x2000, v68
	s_nop 1
	v_addc_co_u32_e32 v5, vcc, 0, v69, vcc
	global_load_dwordx2 v[64:65], v[4:5], off
.LBB10_5:
	s_or_b64 exec, exec, s[0:1]
	v_or_b32_e32 v1, 0x800, v0
	v_cmp_gt_u32_e64 s[60:61], s33, v1
                                        ; implicit-def: $vgpr62_vgpr63
	s_and_saveexec_b64 s[0:1], s[60:61]
	s_cbranch_execz .LBB10_7
; %bb.6:
	v_add_co_u32_e32 v4, vcc, 0x4000, v68
	s_nop 1
	v_addc_co_u32_e32 v5, vcc, 0, v69, vcc
	global_load_dwordx2 v[62:63], v[4:5], off
.LBB10_7:
	s_or_b64 exec, exec, s[0:1]
	v_or_b32_e32 v1, 0xc00, v0
	v_cmp_gt_u32_e64 s[58:59], s33, v1
                                        ; implicit-def: $vgpr60_vgpr61
	s_and_saveexec_b64 s[0:1], s[58:59]
	s_cbranch_execz .LBB10_9
; %bb.8:
	v_add_co_u32_e32 v4, vcc, 0x6000, v68
	s_nop 1
	v_addc_co_u32_e32 v5, vcc, 0, v69, vcc
	global_load_dwordx2 v[60:61], v[4:5], off
.LBB10_9:
	s_or_b64 exec, exec, s[0:1]
	v_or_b32_e32 v1, 0x1000, v0
	v_cmp_gt_u32_e64 s[56:57], s33, v1
                                        ; implicit-def: $vgpr58_vgpr59
	s_and_saveexec_b64 s[0:1], s[56:57]
	s_cbranch_execz .LBB10_11
; %bb.10:
	v_add_co_u32_e32 v4, vcc, 0x8000, v68
	s_nop 1
	v_addc_co_u32_e32 v5, vcc, 0, v69, vcc
	global_load_dwordx2 v[58:59], v[4:5], off
.LBB10_11:
	s_or_b64 exec, exec, s[0:1]
	v_or_b32_e32 v1, 0x1400, v0
	v_cmp_gt_u32_e64 s[54:55], s33, v1
                                        ; implicit-def: $vgpr56_vgpr57
	s_and_saveexec_b64 s[0:1], s[54:55]
	s_cbranch_execz .LBB10_13
; %bb.12:
	v_add_co_u32_e32 v4, vcc, 0xa000, v68
	s_nop 1
	v_addc_co_u32_e32 v5, vcc, 0, v69, vcc
	global_load_dwordx2 v[56:57], v[4:5], off
.LBB10_13:
	s_or_b64 exec, exec, s[0:1]
	v_or_b32_e32 v1, 0x1800, v0
	v_cmp_gt_u32_e64 s[52:53], s33, v1
                                        ; implicit-def: $vgpr54_vgpr55
	s_and_saveexec_b64 s[0:1], s[52:53]
	s_cbranch_execz .LBB10_15
; %bb.14:
	v_add_co_u32_e32 v4, vcc, 0xc000, v68
	s_nop 1
	v_addc_co_u32_e32 v5, vcc, 0, v69, vcc
	global_load_dwordx2 v[54:55], v[4:5], off
.LBB10_15:
	s_or_b64 exec, exec, s[0:1]
	v_or_b32_e32 v1, 0x1c00, v0
	v_cmp_gt_u32_e64 s[50:51], s33, v1
                                        ; implicit-def: $vgpr52_vgpr53
	s_and_saveexec_b64 s[0:1], s[50:51]
	s_cbranch_execz .LBB10_17
; %bb.16:
	v_add_co_u32_e32 v4, vcc, 0xe000, v68
	s_nop 1
	v_addc_co_u32_e32 v5, vcc, 0, v69, vcc
	global_load_dwordx2 v[52:53], v[4:5], off
.LBB10_17:
	s_or_b64 exec, exec, s[0:1]
	v_or_b32_e32 v1, 0x2000, v0
	v_cmp_gt_u32_e64 s[48:49], s33, v1
                                        ; implicit-def: $vgpr50_vgpr51
	s_and_saveexec_b64 s[0:1], s[48:49]
	s_cbranch_execz .LBB10_19
; %bb.18:
	v_add_co_u32_e32 v4, vcc, 0x10000, v68
	s_nop 1
	v_addc_co_u32_e32 v5, vcc, 0, v69, vcc
	global_load_dwordx2 v[50:51], v[4:5], off
.LBB10_19:
	s_or_b64 exec, exec, s[0:1]
	v_or_b32_e32 v1, 0x2400, v0
	v_cmp_gt_u32_e64 s[46:47], s33, v1
                                        ; implicit-def: $vgpr48_vgpr49
	s_and_saveexec_b64 s[0:1], s[46:47]
	s_cbranch_execz .LBB10_21
; %bb.20:
	v_add_co_u32_e32 v4, vcc, 0x12000, v68
	s_nop 1
	v_addc_co_u32_e32 v5, vcc, 0, v69, vcc
	global_load_dwordx2 v[48:49], v[4:5], off
.LBB10_21:
	s_or_b64 exec, exec, s[0:1]
	v_or_b32_e32 v1, 0x2800, v0
	v_cmp_gt_u32_e64 s[44:45], s33, v1
                                        ; implicit-def: $vgpr46_vgpr47
	s_and_saveexec_b64 s[0:1], s[44:45]
	s_cbranch_execz .LBB10_23
; %bb.22:
	v_add_co_u32_e32 v4, vcc, 0x14000, v68
	s_nop 1
	v_addc_co_u32_e32 v5, vcc, 0, v69, vcc
	global_load_dwordx2 v[46:47], v[4:5], off
.LBB10_23:
	s_or_b64 exec, exec, s[0:1]
	v_or_b32_e32 v1, 0x2c00, v0
	v_cmp_gt_u32_e64 s[42:43], s33, v1
                                        ; implicit-def: $vgpr44_vgpr45
	s_and_saveexec_b64 s[0:1], s[42:43]
	s_cbranch_execz .LBB10_25
; %bb.24:
	v_add_co_u32_e32 v4, vcc, 0x16000, v68
	s_nop 1
	v_addc_co_u32_e32 v5, vcc, 0, v69, vcc
	global_load_dwordx2 v[44:45], v[4:5], off
.LBB10_25:
	s_or_b64 exec, exec, s[0:1]
	v_or_b32_e32 v1, 0x3000, v0
	v_cmp_gt_u32_e64 s[40:41], s33, v1
                                        ; implicit-def: $vgpr42_vgpr43
	s_and_saveexec_b64 s[0:1], s[40:41]
	s_cbranch_execz .LBB10_27
; %bb.26:
	v_add_co_u32_e32 v4, vcc, 0x18000, v68
	s_nop 1
	v_addc_co_u32_e32 v5, vcc, 0, v69, vcc
	global_load_dwordx2 v[42:43], v[4:5], off
.LBB10_27:
	s_or_b64 exec, exec, s[0:1]
	v_or_b32_e32 v1, 0x3400, v0
	v_cmp_gt_u32_e64 s[38:39], s33, v1
                                        ; implicit-def: $vgpr40_vgpr41
	s_and_saveexec_b64 s[0:1], s[38:39]
	s_cbranch_execz .LBB10_29
; %bb.28:
	v_add_co_u32_e32 v4, vcc, 0x1a000, v68
	s_nop 1
	v_addc_co_u32_e32 v5, vcc, 0, v69, vcc
	global_load_dwordx2 v[40:41], v[4:5], off
.LBB10_29:
	s_or_b64 exec, exec, s[0:1]
	v_or_b32_e32 v1, 0x3800, v0
	v_cmp_gt_u32_e64 s[36:37], s33, v1
                                        ; implicit-def: $vgpr38_vgpr39
	s_and_saveexec_b64 s[0:1], s[36:37]
	s_cbranch_execz .LBB10_31
; %bb.30:
	v_add_co_u32_e32 v4, vcc, 0x1c000, v68
	s_nop 1
	v_addc_co_u32_e32 v5, vcc, 0, v69, vcc
	global_load_dwordx2 v[38:39], v[4:5], off
.LBB10_31:
	s_or_b64 exec, exec, s[0:1]
	v_or_b32_e32 v1, 0x3c00, v0
	v_cmp_gt_u32_e64 s[34:35], s33, v1
                                        ; implicit-def: $vgpr36_vgpr37
	s_and_saveexec_b64 s[0:1], s[34:35]
	s_cbranch_execz .LBB10_33
; %bb.32:
	v_add_co_u32_e32 v4, vcc, 0x1e000, v68
	s_nop 1
	v_addc_co_u32_e32 v5, vcc, 0, v69, vcc
	global_load_dwordx2 v[36:37], v[4:5], off
.LBB10_33:
	s_or_b64 exec, exec, s[0:1]
	v_or_b32_e32 v1, 0x4000, v0
	v_cmp_gt_u32_e64 s[30:31], s33, v1
                                        ; implicit-def: $vgpr34_vgpr35
	s_and_saveexec_b64 s[0:1], s[30:31]
	s_cbranch_execz .LBB10_35
; %bb.34:
	v_add_co_u32_e32 v4, vcc, 0x20000, v68
	s_nop 1
	v_addc_co_u32_e32 v5, vcc, 0, v69, vcc
	global_load_dwordx2 v[34:35], v[4:5], off
.LBB10_35:
	s_or_b64 exec, exec, s[0:1]
	v_or_b32_e32 v1, 0x4400, v0
	v_cmp_gt_u32_e64 s[28:29], s33, v1
                                        ; implicit-def: $vgpr32_vgpr33
	s_and_saveexec_b64 s[0:1], s[28:29]
	s_cbranch_execz .LBB10_37
; %bb.36:
	v_add_co_u32_e32 v4, vcc, 0x22000, v68
	s_nop 1
	v_addc_co_u32_e32 v5, vcc, 0, v69, vcc
	global_load_dwordx2 v[32:33], v[4:5], off
.LBB10_37:
	s_or_b64 exec, exec, s[0:1]
	v_or_b32_e32 v1, 0x4800, v0
	v_cmp_gt_u32_e64 s[26:27], s33, v1
                                        ; implicit-def: $vgpr30_vgpr31
	s_and_saveexec_b64 s[0:1], s[26:27]
	s_cbranch_execz .LBB10_39
; %bb.38:
	v_add_co_u32_e32 v4, vcc, 0x24000, v68
	s_nop 1
	v_addc_co_u32_e32 v5, vcc, 0, v69, vcc
	global_load_dwordx2 v[30:31], v[4:5], off
.LBB10_39:
	s_or_b64 exec, exec, s[0:1]
	v_or_b32_e32 v1, 0x4c00, v0
	v_cmp_gt_u32_e64 s[24:25], s33, v1
                                        ; implicit-def: $vgpr28_vgpr29
	s_and_saveexec_b64 s[0:1], s[24:25]
	s_cbranch_execz .LBB10_41
; %bb.40:
	v_add_co_u32_e32 v4, vcc, 0x26000, v68
	s_nop 1
	v_addc_co_u32_e32 v5, vcc, 0, v69, vcc
	global_load_dwordx2 v[28:29], v[4:5], off
.LBB10_41:
	s_or_b64 exec, exec, s[0:1]
	v_or_b32_e32 v1, 0x5000, v0
	v_cmp_gt_u32_e64 s[22:23], s33, v1
                                        ; implicit-def: $vgpr26_vgpr27
	s_and_saveexec_b64 s[0:1], s[22:23]
	s_cbranch_execz .LBB10_43
; %bb.42:
	v_add_co_u32_e32 v4, vcc, 0x28000, v68
	s_nop 1
	v_addc_co_u32_e32 v5, vcc, 0, v69, vcc
	global_load_dwordx2 v[26:27], v[4:5], off
.LBB10_43:
	s_or_b64 exec, exec, s[0:1]
	v_or_b32_e32 v1, 0x5400, v0
	v_cmp_gt_u32_e64 s[20:21], s33, v1
                                        ; implicit-def: $vgpr24_vgpr25
	s_and_saveexec_b64 s[0:1], s[20:21]
	s_cbranch_execz .LBB10_45
; %bb.44:
	v_add_co_u32_e32 v4, vcc, 0x2a000, v68
	s_nop 1
	v_addc_co_u32_e32 v5, vcc, 0, v69, vcc
	global_load_dwordx2 v[24:25], v[4:5], off
.LBB10_45:
	s_or_b64 exec, exec, s[0:1]
	v_or_b32_e32 v1, 0x5800, v0
	v_cmp_gt_u32_e64 s[18:19], s33, v1
                                        ; implicit-def: $vgpr22_vgpr23
	s_and_saveexec_b64 s[0:1], s[18:19]
	s_cbranch_execz .LBB10_47
; %bb.46:
	v_add_co_u32_e32 v4, vcc, 0x2c000, v68
	s_nop 1
	v_addc_co_u32_e32 v5, vcc, 0, v69, vcc
	global_load_dwordx2 v[22:23], v[4:5], off
.LBB10_47:
	s_or_b64 exec, exec, s[0:1]
	v_or_b32_e32 v1, 0x5c00, v0
	v_cmp_gt_u32_e64 s[16:17], s33, v1
                                        ; implicit-def: $vgpr20_vgpr21
	s_and_saveexec_b64 s[0:1], s[16:17]
	s_cbranch_execz .LBB10_49
; %bb.48:
	v_add_co_u32_e32 v4, vcc, 0x2e000, v68
	s_nop 1
	v_addc_co_u32_e32 v5, vcc, 0, v69, vcc
	global_load_dwordx2 v[20:21], v[4:5], off
.LBB10_49:
	s_or_b64 exec, exec, s[0:1]
	v_or_b32_e32 v1, 0x6000, v0
	v_cmp_gt_u32_e64 s[14:15], s33, v1
                                        ; implicit-def: $vgpr18_vgpr19
	s_and_saveexec_b64 s[0:1], s[14:15]
	s_cbranch_execz .LBB10_51
; %bb.50:
	v_add_co_u32_e32 v4, vcc, 0x30000, v68
	s_nop 1
	v_addc_co_u32_e32 v5, vcc, 0, v69, vcc
	global_load_dwordx2 v[18:19], v[4:5], off
.LBB10_51:
	s_or_b64 exec, exec, s[0:1]
	v_or_b32_e32 v1, 0x6400, v0
	v_cmp_gt_u32_e64 s[12:13], s33, v1
                                        ; implicit-def: $vgpr16_vgpr17
	s_and_saveexec_b64 s[0:1], s[12:13]
	s_cbranch_execz .LBB10_53
; %bb.52:
	v_add_co_u32_e32 v4, vcc, 0x32000, v68
	s_nop 1
	v_addc_co_u32_e32 v5, vcc, 0, v69, vcc
	global_load_dwordx2 v[16:17], v[4:5], off
.LBB10_53:
	s_or_b64 exec, exec, s[0:1]
	v_or_b32_e32 v1, 0x6800, v0
	v_cmp_gt_u32_e64 s[10:11], s33, v1
                                        ; implicit-def: $vgpr14_vgpr15
	s_and_saveexec_b64 s[0:1], s[10:11]
	s_cbranch_execz .LBB10_55
; %bb.54:
	v_add_co_u32_e32 v4, vcc, 0x34000, v68
	s_nop 1
	v_addc_co_u32_e32 v5, vcc, 0, v69, vcc
	global_load_dwordx2 v[14:15], v[4:5], off
.LBB10_55:
	s_or_b64 exec, exec, s[0:1]
	v_or_b32_e32 v1, 0x6c00, v0
	v_cmp_gt_u32_e64 s[8:9], s33, v1
                                        ; implicit-def: $vgpr12_vgpr13
	s_and_saveexec_b64 s[0:1], s[8:9]
	s_cbranch_execz .LBB10_57
; %bb.56:
	v_add_co_u32_e32 v4, vcc, 0x36000, v68
	s_nop 1
	v_addc_co_u32_e32 v5, vcc, 0, v69, vcc
	global_load_dwordx2 v[12:13], v[4:5], off
.LBB10_57:
	s_or_b64 exec, exec, s[0:1]
	v_or_b32_e32 v1, 0x7000, v0
	v_cmp_gt_u32_e64 s[6:7], s33, v1
                                        ; implicit-def: $vgpr10_vgpr11
	s_and_saveexec_b64 s[0:1], s[6:7]
	s_cbranch_execz .LBB10_59
; %bb.58:
	v_add_co_u32_e32 v4, vcc, 0x38000, v68
	s_nop 1
	v_addc_co_u32_e32 v5, vcc, 0, v69, vcc
	global_load_dwordx2 v[10:11], v[4:5], off
.LBB10_59:
	s_or_b64 exec, exec, s[0:1]
	v_or_b32_e32 v1, 0x7400, v0
	v_cmp_gt_u32_e64 s[4:5], s33, v1
                                        ; implicit-def: $vgpr8_vgpr9
	s_and_saveexec_b64 s[0:1], s[4:5]
	s_cbranch_execz .LBB10_61
; %bb.60:
	v_add_co_u32_e32 v4, vcc, 0x3a000, v68
	s_nop 1
	v_addc_co_u32_e32 v5, vcc, 0, v69, vcc
	global_load_dwordx2 v[8:9], v[4:5], off
.LBB10_61:
	s_or_b64 exec, exec, s[0:1]
	v_or_b32_e32 v1, 0x7800, v0
	v_cmp_gt_u32_e64 s[2:3], s33, v1
                                        ; implicit-def: $vgpr6_vgpr7
	s_and_saveexec_b64 s[0:1], s[2:3]
	s_cbranch_execz .LBB10_63
; %bb.62:
	v_add_co_u32_e32 v4, vcc, 0x3c000, v68
	s_nop 1
	v_addc_co_u32_e32 v5, vcc, 0, v69, vcc
	global_load_dwordx2 v[6:7], v[4:5], off
.LBB10_63:
	s_or_b64 exec, exec, s[0:1]
	v_or_b32_e32 v1, 0x7c00, v0
	v_cmp_gt_u32_e64 s[0:1], s33, v1
                                        ; implicit-def: $vgpr4_vgpr5
	s_and_saveexec_b64 s[68:69], s[0:1]
	s_cbranch_execz .LBB10_65
; %bb.64:
	v_add_co_u32_e32 v4, vcc, 0x3e000, v68
	s_nop 1
	v_addc_co_u32_e32 v5, vcc, 0, v69, vcc
	global_load_dwordx2 v[4:5], v[4:5], off
.LBB10_65:
	s_or_b64 exec, exec, s[68:69]
	s_cmp_gt_u32 s73, s72
	v_lshlrev_b32_e32 v1, 2, v0
	v_mov_b32_e32 v3, 0
	s_cselect_b64 s[68:69], -1, 0
	s_cmp_le_u32 s73, s72
	ds_write2st64_b32 v1, v3, v3 offset1:16
	ds_write2st64_b32 v1, v3, v3 offset0:32 offset1:48
	ds_write2st64_b32 v1, v3, v3 offset0:64 offset1:80
	;; [unrolled: 1-line block ×3, first 2 shown]
	s_waitcnt lgkmcnt(0)
	s_barrier
	s_cbranch_scc1 .LBB10_194
; %bb.66:
	v_and_b32_e32 v1, 3, v0
	v_lshlrev_b32_e32 v1, 2, v1
	s_sub_i32 s33, s73, s72
	s_waitcnt vmcnt(0)
	v_xor_b32_e32 v67, 0x7fffffff, v67
	v_not_b32_e32 v66, v66
	v_mov_b32_e32 v3, 1
	s_mov_b32 s76, s33
	v_mov_b32_e32 v68, v1
	s_mov_b32 s77, s72
	s_branch .LBB10_68
.LBB10_67:                              ;   in Loop: Header=BB10_68 Depth=1
	s_or_b64 exec, exec, s[70:71]
	s_add_i32 s77, s77, 8
	s_add_i32 s76, s76, -8
	s_cmp_lt_u32 s77, s73
	v_add_u32_e32 v68, 0x1000, v68
	s_cbranch_scc0 .LBB10_70
.LBB10_68:                              ; =>This Inner Loop Header: Depth=1
	s_and_saveexec_b64 s[70:71], s[64:65]
	s_cbranch_execz .LBB10_67
; %bb.69:                               ;   in Loop: Header=BB10_68 Depth=1
	s_min_u32 s78, s76, 8
	v_lshrrev_b64 v[70:71], s77, v[66:67]
	v_bfe_u32 v69, v70, 0, s78
	v_lshl_add_u32 v69, v69, 4, v68
	ds_add_u32 v69, v3
	s_branch .LBB10_67
.LBB10_70:
	v_xor_b32_e32 v65, 0x7fffffff, v65
	v_not_b32_e32 v64, v64
	v_mov_b32_e32 v3, 1
	s_mov_b32 s70, s33
	v_mov_b32_e32 v66, v1
	s_mov_b32 s71, s72
	s_branch .LBB10_72
.LBB10_71:                              ;   in Loop: Header=BB10_72 Depth=1
	s_or_b64 exec, exec, s[64:65]
	s_add_i32 s71, s71, 8
	s_add_i32 s70, s70, -8
	s_cmp_lt_u32 s71, s73
	v_add_u32_e32 v66, 0x1000, v66
	s_cbranch_scc0 .LBB10_74
.LBB10_72:                              ; =>This Inner Loop Header: Depth=1
	s_and_saveexec_b64 s[64:65], s[62:63]
	s_cbranch_execz .LBB10_71
; %bb.73:                               ;   in Loop: Header=BB10_72 Depth=1
	s_min_u32 s76, s70, 8
	v_lshrrev_b64 v[68:69], s71, v[64:65]
	v_bfe_u32 v67, v68, 0, s76
	v_lshl_add_u32 v67, v67, 4, v66
	ds_add_u32 v67, v3
	s_branch .LBB10_71
.LBB10_74:
	;; [unrolled: 25-line block ×8, first 2 shown]
	v_xor_b32_e32 v51, 0x7fffffff, v51
	v_not_b32_e32 v50, v50
	v_mov_b32_e32 v3, 1
	s_mov_b32 s52, s33
	v_mov_b32_e32 v52, v1
	s_mov_b32 s53, s72
	s_branch .LBB10_100
.LBB10_99:                              ;   in Loop: Header=BB10_100 Depth=1
	s_or_b64 exec, exec, s[50:51]
	s_add_i32 s53, s53, 8
	s_add_i32 s52, s52, -8
	s_cmp_lt_u32 s53, s73
	v_add_u32_e32 v52, 0x1000, v52
	s_cbranch_scc0 .LBB10_102
.LBB10_100:                             ; =>This Inner Loop Header: Depth=1
	s_and_saveexec_b64 s[50:51], s[48:49]
	s_cbranch_execz .LBB10_99
; %bb.101:                              ;   in Loop: Header=BB10_100 Depth=1
	s_min_u32 s54, s52, 8
	v_lshrrev_b64 v[54:55], s53, v[50:51]
	v_bfe_u32 v53, v54, 0, s54
	v_lshl_add_u32 v53, v53, 4, v52
	ds_add_u32 v53, v3
	s_branch .LBB10_99
.LBB10_102:
	v_xor_b32_e32 v49, 0x7fffffff, v49
	v_not_b32_e32 v48, v48
	v_mov_b32_e32 v3, 1
	s_mov_b32 s50, s33
	v_mov_b32_e32 v50, v1
	s_mov_b32 s51, s72
	s_branch .LBB10_104
.LBB10_103:                             ;   in Loop: Header=BB10_104 Depth=1
	s_or_b64 exec, exec, s[48:49]
	s_add_i32 s51, s51, 8
	s_add_i32 s50, s50, -8
	s_cmp_lt_u32 s51, s73
	v_add_u32_e32 v50, 0x1000, v50
	s_cbranch_scc0 .LBB10_106
.LBB10_104:                             ; =>This Inner Loop Header: Depth=1
	s_and_saveexec_b64 s[48:49], s[46:47]
	s_cbranch_execz .LBB10_103
; %bb.105:                              ;   in Loop: Header=BB10_104 Depth=1
	s_min_u32 s52, s50, 8
	v_lshrrev_b64 v[52:53], s51, v[48:49]
	v_bfe_u32 v51, v52, 0, s52
	v_lshl_add_u32 v51, v51, 4, v50
	ds_add_u32 v51, v3
	s_branch .LBB10_103
.LBB10_106:
	v_xor_b32_e32 v47, 0x7fffffff, v47
	v_not_b32_e32 v46, v46
	v_mov_b32_e32 v3, 1
	s_mov_b32 s48, s33
	v_mov_b32_e32 v48, v1
	s_mov_b32 s49, s72
	s_branch .LBB10_108
.LBB10_107:                             ;   in Loop: Header=BB10_108 Depth=1
	s_or_b64 exec, exec, s[46:47]
	s_add_i32 s49, s49, 8
	s_add_i32 s48, s48, -8
	s_cmp_lt_u32 s49, s73
	v_add_u32_e32 v48, 0x1000, v48
	s_cbranch_scc0 .LBB10_110
.LBB10_108:                             ; =>This Inner Loop Header: Depth=1
	s_and_saveexec_b64 s[46:47], s[44:45]
	s_cbranch_execz .LBB10_107
; %bb.109:                              ;   in Loop: Header=BB10_108 Depth=1
	s_min_u32 s50, s48, 8
	v_lshrrev_b64 v[50:51], s49, v[46:47]
	v_bfe_u32 v49, v50, 0, s50
	v_lshl_add_u32 v49, v49, 4, v48
	ds_add_u32 v49, v3
	s_branch .LBB10_107
.LBB10_110:
	;; [unrolled: 25-line block ×22, first 2 shown]
	v_xor_b32_e32 v5, 0x7fffffff, v5
	v_not_b32_e32 v4, v4
	v_mov_b32_e32 v3, 1
	s_mov_b32 s4, s72
	s_branch .LBB10_192
.LBB10_191:                             ;   in Loop: Header=BB10_192 Depth=1
	s_or_b64 exec, exec, s[2:3]
	s_add_i32 s4, s4, 8
	s_add_i32 s33, s33, -8
	s_cmp_lt_u32 s4, s73
	v_add_u32_e32 v1, 0x1000, v1
	s_cbranch_scc0 .LBB10_194
.LBB10_192:                             ; =>This Inner Loop Header: Depth=1
	s_and_saveexec_b64 s[2:3], s[0:1]
	s_cbranch_execz .LBB10_191
; %bb.193:                              ;   in Loop: Header=BB10_192 Depth=1
	s_min_u32 s5, s33, 8
	v_lshrrev_b64 v[6:7], s4, v[4:5]
	v_bfe_u32 v6, v6, 0, s5
	v_lshl_add_u32 v6, v6, 4, v1
	ds_add_u32 v6, v3
	s_branch .LBB10_191
.LBB10_194:
	s_and_b64 vcc, exec, s[68:69]
	s_waitcnt lgkmcnt(0)
	s_barrier
	s_cbranch_vccz .LBB10_199
; %bb.195:
	s_movk_i32 s0, 0x100
	v_cmp_gt_u32_e32 vcc, s0, v0
	v_lshlrev_b32_e32 v1, 4, v0
	s_waitcnt vmcnt(0)
	v_mov_b32_e32 v5, 0
	v_mov_b32_e32 v4, v0
	s_mov_b32 s2, s72
	s_branch .LBB10_197
.LBB10_196:                             ;   in Loop: Header=BB10_197 Depth=1
	s_or_b64 exec, exec, s[0:1]
	s_add_i32 s2, s2, 8
	v_add_u32_e32 v4, 0x100, v4
	s_cmp_lt_u32 s2, s73
	v_add_u32_e32 v1, 0x1000, v1
	s_cbranch_scc0 .LBB10_199
.LBB10_197:                             ; =>This Inner Loop Header: Depth=1
	s_and_saveexec_b64 s[0:1], vcc
	s_cbranch_execz .LBB10_196
; %bb.198:                              ;   in Loop: Header=BB10_197 Depth=1
	ds_read2_b32 v[6:7], v1 offset1:1
	ds_read2_b32 v[8:9], v1 offset0:2 offset1:3
	v_lshl_add_u64 v[10:11], v[4:5], 3, s[66:67]
	s_waitcnt lgkmcnt(1)
	v_add_u32_e32 v3, v7, v6
	s_waitcnt lgkmcnt(0)
	v_add3_u32 v6, v3, v8, v9
	v_mov_b32_e32 v7, v5
	global_atomic_add_x2 v[10:11], v[6:7], off
	s_branch .LBB10_196
.LBB10_199:
	s_mov_b64 s[0:1], 0
.LBB10_200:
	s_and_b64 vcc, exec, s[0:1]
	s_cbranch_vccz .LBB10_276
; %bb.201:
	v_mov_b32_e32 v3, 0
	s_waitcnt vmcnt(0)
	v_lshl_add_u64 v[6:7], s[74:75], 0, v[2:3]
	v_add_co_u32_e32 v4, vcc, 0x2000, v6
	s_cmp_eq_u32 s72, 0
	s_nop 0
	v_addc_co_u32_e32 v5, vcc, 0, v7, vcc
	v_add_co_u32_e32 v8, vcc, 0x4000, v6
	s_cselect_b64 s[0:1], -1, 0
	s_nop 0
	v_addc_co_u32_e32 v9, vcc, 0, v7, vcc
	v_add_co_u32_e32 v10, vcc, 0x6000, v6
	s_cmp_eq_u32 s73, 64
	s_nop 0
	v_addc_co_u32_e32 v11, vcc, 0, v7, vcc
	v_add_co_u32_e32 v12, vcc, 0x8000, v6
	s_cselect_b64 s[2:3], -1, 0
	s_nop 0
	v_addc_co_u32_e32 v13, vcc, 0, v7, vcc
	v_add_co_u32_e32 v14, vcc, 0xa000, v6
	s_and_b64 s[2:3], s[0:1], s[2:3]
	s_nop 0
	v_addc_co_u32_e32 v15, vcc, 0, v7, vcc
	v_add_co_u32_e32 v16, vcc, 0xc000, v6
	s_mov_b64 s[0:1], -1
	s_nop 0
	v_addc_co_u32_e32 v17, vcc, 0, v7, vcc
	v_add_co_u32_e32 v18, vcc, 0xe000, v6
	s_nop 1
	v_addc_co_u32_e32 v19, vcc, 0, v7, vcc
	v_add_co_u32_e32 v20, vcc, 0x10000, v6
	;; [unrolled: 3-line block ×25, first 2 shown]
	s_nop 1
	v_addc_co_u32_e32 v97, vcc, 0, v7, vcc
	global_load_dwordx2 v[64:65], v[4:5], off
	global_load_dwordx2 v[62:63], v[8:9], off
	;; [unrolled: 1-line block ×15, first 2 shown]
	s_nop 0
	global_load_dwordx2 v[34:35], v[66:67], off
	global_load_dwordx2 v[32:33], v[68:69], off
	;; [unrolled: 1-line block ×16, first 2 shown]
	global_load_dwordx2 v[66:67], v2, s[74:75]
	s_and_b64 vcc, exec, s[2:3]
	v_lshlrev_b32_e32 v70, 2, v0
	s_cbranch_vccnz .LBB10_273
; %bb.202:
	s_cmp_gt_u32 s73, s72
	s_cselect_b64 s[0:1], -1, 0
	s_cmp_le_u32 s73, s72
	ds_write2st64_b32 v70, v3, v3 offset1:16
	ds_write2st64_b32 v70, v3, v3 offset0:32 offset1:48
	ds_write2st64_b32 v70, v3, v3 offset0:64 offset1:80
	;; [unrolled: 1-line block ×3, first 2 shown]
	s_waitcnt lgkmcnt(0)
	s_barrier
	s_cbranch_scc1 .LBB10_267
; %bb.203:
	v_and_b32_e32 v1, 3, v0
	v_lshlrev_b32_e32 v1, 2, v1
	s_sub_i32 s2, s73, s72
	s_waitcnt vmcnt(0)
	v_xor_b32_e32 v69, 0x7fffffff, v67
	v_not_b32_e32 v68, v66
	v_mov_b32_e32 v3, 1
	s_mov_b32 s3, s2
	v_mov_b32_e32 v71, v1
	s_mov_b32 s4, s72
.LBB10_204:                             ; =>This Inner Loop Header: Depth=1
	s_min_u32 s5, s3, 8
	v_lshrrev_b64 v[72:73], s4, v[68:69]
	v_bfe_u32 v72, v72, 0, s5
	v_lshl_add_u32 v72, v72, 4, v71
	ds_add_u32 v72, v3
	s_add_i32 s4, s4, 8
	s_add_i32 s3, s3, -8
	s_cmp_lt_u32 s4, s73
	v_add_u32_e32 v71, 0x1000, v71
	s_cbranch_scc1 .LBB10_204
; %bb.205:
	v_xor_b32_e32 v69, 0x7fffffff, v65
	v_not_b32_e32 v68, v64
	v_mov_b32_e32 v3, 1
	s_mov_b32 s3, s2
	v_mov_b32_e32 v71, v1
	s_mov_b32 s4, s72
.LBB10_206:                             ; =>This Inner Loop Header: Depth=1
	s_min_u32 s5, s3, 8
	v_lshrrev_b64 v[72:73], s4, v[68:69]
	v_bfe_u32 v72, v72, 0, s5
	v_lshl_add_u32 v72, v72, 4, v71
	ds_add_u32 v72, v3
	s_add_i32 s4, s4, 8
	s_add_i32 s3, s3, -8
	s_cmp_lt_u32 s4, s73
	v_add_u32_e32 v71, 0x1000, v71
	s_cbranch_scc1 .LBB10_206
; %bb.207:
	;; [unrolled: 18-line block ×31, first 2 shown]
	v_xor_b32_e32 v69, 0x7fffffff, v9
	v_not_b32_e32 v68, v8
	v_mov_b32_e32 v3, 1
	s_mov_b32 s3, s72
.LBB10_266:                             ; =>This Inner Loop Header: Depth=1
	s_min_u32 s4, s2, 8
	v_lshrrev_b64 v[72:73], s3, v[68:69]
	v_bfe_u32 v71, v72, 0, s4
	v_lshl_add_u32 v71, v71, 4, v1
	ds_add_u32 v71, v3
	s_add_i32 s3, s3, 8
	s_add_i32 s2, s2, -8
	s_cmp_lt_u32 s3, s73
	v_add_u32_e32 v1, 0x1000, v1
	s_cbranch_scc1 .LBB10_266
.LBB10_267:
	s_and_b64 vcc, exec, s[0:1]
	s_waitcnt lgkmcnt(0)
	s_barrier
	s_cbranch_vccz .LBB10_272
; %bb.268:
	s_movk_i32 s0, 0x100
	v_cmp_gt_u32_e32 vcc, s0, v0
	v_lshlrev_b32_e32 v1, 4, v0
	v_mov_b32_e32 v69, 0
	v_mov_b32_e32 v68, v0
	s_branch .LBB10_270
.LBB10_269:                             ;   in Loop: Header=BB10_270 Depth=1
	s_or_b64 exec, exec, s[0:1]
	s_add_i32 s72, s72, 8
	v_add_u32_e32 v68, 0x100, v68
	s_cmp_ge_u32 s72, s73
	v_add_u32_e32 v1, 0x1000, v1
	s_cbranch_scc1 .LBB10_272
.LBB10_270:                             ; =>This Inner Loop Header: Depth=1
	s_and_saveexec_b64 s[0:1], vcc
	s_cbranch_execz .LBB10_269
; %bb.271:                              ;   in Loop: Header=BB10_270 Depth=1
	ds_read2_b32 v[72:73], v1 offset1:1
	ds_read2_b32 v[74:75], v1 offset0:2 offset1:3
	v_lshl_add_u64 v[76:77], v[68:69], 3, s[66:67]
	s_waitcnt lgkmcnt(1)
	v_add_u32_e32 v3, v73, v72
	s_waitcnt lgkmcnt(0)
	v_add3_u32 v72, v3, v74, v75
	v_mov_b32_e32 v73, v69
	global_atomic_add_x2 v[76:77], v[72:73], off
	s_branch .LBB10_269
.LBB10_272:
	s_mov_b64 s[0:1], 0
.LBB10_273:
	s_and_b64 vcc, exec, s[0:1]
	s_cbranch_vccz .LBB10_276
; %bb.274:
	s_waitcnt vmcnt(0)
	v_xor_b32_e32 v66, -1, v66
	v_xor_b32_e32 v68, -1, v58
	v_xor_b32_e32 v69, 0x7fffffff, v57
	v_xor_b32_e32 v57, 0x7fffffff, v55
	v_xor_b32_e32 v58, -1, v54
	v_xor_b32_e32 v55, 0x7fffffff, v53
	v_xor_b32_e32 v53, 0x7fffffff, v51
	;; [unrolled: 3-line block ×13, first 2 shown]
	v_xor_b32_e32 v10, -1, v4
	v_and_b32_e32 v4, 3, v0
	s_movk_i32 s0, 0x3fc
	v_lshlrev_b32_e32 v5, 2, v66
	v_mov_b32_e32 v1, 0
	v_and_or_b32 v5, v5, s0, v4
	ds_write2st64_b32 v70, v1, v1 offset1:16
	ds_write2st64_b32 v70, v1, v1 offset0:32 offset1:48
	ds_write2st64_b32 v70, v1, v1 offset0:64 offset1:80
	;; [unrolled: 1-line block ×3, first 2 shown]
	v_xor_b32_e32 v70, -1, v56
	v_xor_b32_e32 v56, -1, v52
	;; [unrolled: 1-line block ×14, first 2 shown]
	v_lshlrev_b32_e32 v8, 2, v5
	v_mov_b32_e32 v5, 1
	s_waitcnt lgkmcnt(0)
	s_barrier
	ds_add_u32 v8, v5
	v_bfe_u32 v8, v66, 8, 8
	v_lshl_or_b32 v8, v8, 2, v4
	v_lshlrev_b32_e32 v8, 2, v8
	ds_add_u32 v8, v5 offset:4096
	v_bfe_u32 v8, v66, 16, 8
	v_lshl_or_b32 v8, v8, 2, v4
	v_lshlrev_b32_e32 v8, 2, v8
	ds_add_u32 v8, v5 offset:8192
	v_lshrrev_b32_e32 v8, 24, v66
	v_lshl_or_b32 v8, v8, 2, v4
	v_xor_b32_e32 v67, 0x7fffffff, v67
	v_lshlrev_b32_e32 v8, 2, v8
	ds_add_u32 v8, v5 offset:12288
	v_alignbit_b32 v8, v67, v66, 30
	v_and_or_b32 v8, v8, s0, v4
	v_lshlrev_b32_e32 v8, 2, v8
	ds_add_u32 v8, v5 offset:16384
	v_bfe_u32 v8, v67, 8, 8
	v_lshl_or_b32 v8, v8, 2, v4
	v_lshlrev_b32_e32 v8, 2, v8
	ds_add_u32 v8, v5 offset:20480
	v_bfe_u32 v8, v67, 16, 8
	v_lshl_or_b32 v8, v8, 2, v4
	v_lshlrev_b32_e32 v8, 2, v8
	ds_add_u32 v8, v5 offset:24576
	v_lshrrev_b32_e32 v8, 24, v67
	v_lshl_or_b32 v8, v8, 2, v4
	v_xor_b32_e32 v64, -1, v64
	v_lshlrev_b32_e32 v8, 2, v8
	ds_add_u32 v8, v5 offset:28672
	v_lshlrev_b32_e32 v8, 2, v64
	v_and_or_b32 v8, v8, s0, v4
	v_lshlrev_b32_e32 v8, 2, v8
	ds_add_u32 v8, v5
	v_bfe_u32 v8, v64, 8, 8
	v_lshl_or_b32 v8, v8, 2, v4
	v_lshlrev_b32_e32 v8, 2, v8
	ds_add_u32 v8, v5 offset:4096
	v_bfe_u32 v8, v64, 16, 8
	v_lshl_or_b32 v8, v8, 2, v4
	v_lshlrev_b32_e32 v8, 2, v8
	ds_add_u32 v8, v5 offset:8192
	v_lshrrev_b32_e32 v8, 24, v64
	v_lshl_or_b32 v8, v8, 2, v4
	v_xor_b32_e32 v65, 0x7fffffff, v65
	v_lshlrev_b32_e32 v8, 2, v8
	ds_add_u32 v8, v5 offset:12288
	v_alignbit_b32 v8, v65, v64, 30
	v_and_or_b32 v8, v8, s0, v4
	v_lshlrev_b32_e32 v8, 2, v8
	ds_add_u32 v8, v5 offset:16384
	v_bfe_u32 v8, v65, 8, 8
	v_lshl_or_b32 v8, v8, 2, v4
	v_lshlrev_b32_e32 v8, 2, v8
	ds_add_u32 v8, v5 offset:20480
	v_bfe_u32 v8, v65, 16, 8
	v_lshl_or_b32 v8, v8, 2, v4
	v_lshlrev_b32_e32 v8, 2, v8
	ds_add_u32 v8, v5 offset:24576
	v_lshrrev_b32_e32 v8, 24, v65
	v_lshl_or_b32 v8, v8, 2, v4
	v_xor_b32_e32 v62, -1, v62
	v_lshlrev_b32_e32 v8, 2, v8
	ds_add_u32 v8, v5 offset:28672
	v_lshlrev_b32_e32 v8, 2, v62
	v_and_or_b32 v8, v8, s0, v4
	v_lshlrev_b32_e32 v8, 2, v8
	;; [unrolled: 34-line block ×3, first 2 shown]
	ds_add_u32 v8, v5
	v_bfe_u32 v8, v60, 8, 8
	v_lshl_or_b32 v8, v8, 2, v4
	v_lshlrev_b32_e32 v8, 2, v8
	ds_add_u32 v8, v5 offset:4096
	v_bfe_u32 v8, v60, 16, 8
	v_lshl_or_b32 v8, v8, 2, v4
	v_lshlrev_b32_e32 v8, 2, v8
	ds_add_u32 v8, v5 offset:8192
	v_lshrrev_b32_e32 v8, 24, v60
	v_lshl_or_b32 v8, v8, 2, v4
	v_xor_b32_e32 v61, 0x7fffffff, v61
	v_lshlrev_b32_e32 v8, 2, v8
	ds_add_u32 v8, v5 offset:12288
	v_alignbit_b32 v8, v61, v60, 30
	v_and_or_b32 v8, v8, s0, v4
	v_lshlrev_b32_e32 v8, 2, v8
	ds_add_u32 v8, v5 offset:16384
	v_bfe_u32 v8, v61, 8, 8
	v_lshl_or_b32 v8, v8, 2, v4
	v_lshlrev_b32_e32 v8, 2, v8
	ds_add_u32 v8, v5 offset:20480
	v_bfe_u32 v8, v61, 16, 8
	v_lshl_or_b32 v8, v8, 2, v4
	v_lshlrev_b32_e32 v8, 2, v8
	ds_add_u32 v8, v5 offset:24576
	v_lshrrev_b32_e32 v8, 24, v61
	v_lshl_or_b32 v8, v8, 2, v4
	v_lshlrev_b32_e32 v8, 2, v8
	ds_add_u32 v8, v5 offset:28672
	v_lshlrev_b32_e32 v8, 2, v68
	v_and_or_b32 v8, v8, s0, v4
	v_lshlrev_b32_e32 v8, 2, v8
	ds_add_u32 v8, v5
	v_bfe_u32 v8, v68, 8, 8
	v_lshl_or_b32 v8, v8, 2, v4
	v_lshlrev_b32_e32 v8, 2, v8
	ds_add_u32 v8, v5 offset:4096
	v_bfe_u32 v8, v68, 16, 8
	v_lshl_or_b32 v8, v8, 2, v4
	v_lshlrev_b32_e32 v8, 2, v8
	ds_add_u32 v8, v5 offset:8192
	v_lshrrev_b32_e32 v8, 24, v68
	v_lshl_or_b32 v8, v8, 2, v4
	v_xor_b32_e32 v59, 0x7fffffff, v59
	v_lshlrev_b32_e32 v8, 2, v8
	ds_add_u32 v8, v5 offset:12288
	v_alignbit_b32 v8, v59, v68, 30
	v_and_or_b32 v8, v8, s0, v4
	v_lshlrev_b32_e32 v8, 2, v8
	ds_add_u32 v8, v5 offset:16384
	v_bfe_u32 v8, v59, 8, 8
	v_lshl_or_b32 v8, v8, 2, v4
	v_lshlrev_b32_e32 v8, 2, v8
	ds_add_u32 v8, v5 offset:20480
	v_bfe_u32 v8, v59, 16, 8
	v_lshl_or_b32 v8, v8, 2, v4
	v_lshlrev_b32_e32 v8, 2, v8
	ds_add_u32 v8, v5 offset:24576
	v_lshrrev_b32_e32 v8, 24, v59
	v_lshl_or_b32 v8, v8, 2, v4
	v_lshlrev_b32_e32 v8, 2, v8
	ds_add_u32 v8, v5 offset:28672
	v_lshlrev_b32_e32 v8, 2, v70
	v_and_or_b32 v8, v8, s0, v4
	v_lshlrev_b32_e32 v8, 2, v8
	ds_add_u32 v8, v5
	v_bfe_u32 v8, v70, 8, 8
	v_lshl_or_b32 v8, v8, 2, v4
	v_lshlrev_b32_e32 v8, 2, v8
	ds_add_u32 v8, v5 offset:4096
	v_bfe_u32 v8, v70, 16, 8
	v_lshl_or_b32 v8, v8, 2, v4
	v_lshlrev_b32_e32 v8, 2, v8
	ds_add_u32 v8, v5 offset:8192
	v_lshrrev_b32_e32 v8, 24, v70
	v_lshl_or_b32 v8, v8, 2, v4
	v_lshlrev_b32_e32 v8, 2, v8
	ds_add_u32 v8, v5 offset:12288
	v_alignbit_b32 v8, v69, v70, 30
	v_and_or_b32 v8, v8, s0, v4
	v_lshlrev_b32_e32 v8, 2, v8
	ds_add_u32 v8, v5 offset:16384
	v_bfe_u32 v8, v69, 8, 8
	v_lshl_or_b32 v8, v8, 2, v4
	v_lshlrev_b32_e32 v8, 2, v8
	ds_add_u32 v8, v5 offset:20480
	v_bfe_u32 v8, v69, 16, 8
	v_lshl_or_b32 v8, v8, 2, v4
	v_lshlrev_b32_e32 v8, 2, v8
	ds_add_u32 v8, v5 offset:24576
	v_lshrrev_b32_e32 v8, 24, v69
	v_lshl_or_b32 v8, v8, 2, v4
	v_lshlrev_b32_e32 v8, 2, v8
	ds_add_u32 v8, v5 offset:28672
	v_lshlrev_b32_e32 v8, 2, v58
	v_and_or_b32 v8, v8, s0, v4
	v_lshlrev_b32_e32 v8, 2, v8
	ds_add_u32 v8, v5
	v_bfe_u32 v8, v58, 8, 8
	v_lshl_or_b32 v8, v8, 2, v4
	v_lshlrev_b32_e32 v8, 2, v8
	ds_add_u32 v8, v5 offset:4096
	v_bfe_u32 v8, v58, 16, 8
	v_lshl_or_b32 v8, v8, 2, v4
	v_lshlrev_b32_e32 v8, 2, v8
	ds_add_u32 v8, v5 offset:8192
	v_lshrrev_b32_e32 v8, 24, v58
	v_lshl_or_b32 v8, v8, 2, v4
	;; [unrolled: 32-line block ×26, first 2 shown]
	v_lshlrev_b32_e32 v8, 2, v8
	ds_add_u32 v8, v5 offset:12288
	v_alignbit_b32 v8, v7, v10, 30
	v_and_or_b32 v8, v8, s0, v4
	v_lshlrev_b32_e32 v8, 2, v8
	ds_add_u32 v8, v5 offset:16384
	v_bfe_u32 v8, v7, 8, 8
	v_lshl_or_b32 v8, v8, 2, v4
	v_lshlrev_b32_e32 v8, 2, v8
	ds_add_u32 v8, v5 offset:20480
	v_bfe_u32 v8, v7, 16, 8
	v_lshl_or_b32 v8, v8, 2, v4
	v_lshrrev_b32_e32 v7, 24, v7
	v_lshlrev_b32_e32 v8, 2, v8
	v_lshl_or_b32 v7, v7, 2, v4
	ds_add_u32 v8, v5 offset:24576
	v_lshlrev_b32_e32 v7, 2, v7
	ds_add_u32 v7, v5 offset:28672
	v_lshlrev_b32_e32 v7, 2, v6
	v_and_or_b32 v7, v7, s0, v4
	v_lshlrev_b32_e32 v7, 2, v7
	ds_add_u32 v7, v5
	v_bfe_u32 v7, v6, 8, 8
	v_lshl_or_b32 v7, v7, 2, v4
	v_lshlrev_b32_e32 v7, 2, v7
	ds_add_u32 v7, v5 offset:4096
	v_bfe_u32 v7, v6, 16, 8
	v_lshl_or_b32 v7, v7, 2, v4
	v_lshlrev_b32_e32 v7, 2, v7
	v_xor_b32_e32 v3, 0x7fffffff, v9
	ds_add_u32 v7, v5 offset:8192
	v_lshrrev_b32_e32 v7, 24, v6
	v_lshl_or_b32 v7, v7, 2, v4
	v_alignbit_b32 v6, v3, v6, 30
	v_lshlrev_b32_e32 v7, 2, v7
	v_and_or_b32 v6, v6, s0, v4
	ds_add_u32 v7, v5 offset:12288
	v_lshlrev_b32_e32 v6, 2, v6
	ds_add_u32 v6, v5 offset:16384
	v_bfe_u32 v6, v3, 8, 8
	v_lshl_or_b32 v6, v6, 2, v4
	v_lshlrev_b32_e32 v6, 2, v6
	ds_add_u32 v6, v5 offset:20480
	v_bfe_u32 v6, v3, 16, 8
	v_lshl_or_b32 v6, v6, 2, v4
	v_lshrrev_b32_e32 v3, 24, v3
	v_lshlrev_b32_e32 v6, 2, v6
	v_lshl_or_b32 v3, v3, 2, v4
	ds_add_u32 v6, v5 offset:24576
	v_lshlrev_b32_e32 v3, 2, v3
	ds_add_u32 v3, v5 offset:28672
	s_movk_i32 s0, 0x100
	v_cmp_gt_u32_e32 vcc, s0, v0
	s_waitcnt lgkmcnt(0)
	s_barrier
	s_and_saveexec_b64 s[0:1], vcc
	s_cbranch_execz .LBB10_276
; %bb.275:
	v_lshlrev_b32_e32 v3, 4, v0
	ds_read2_b32 v[4:5], v3 offset1:1
	ds_read2_b32 v[6:7], v3 offset0:2 offset1:3
	v_add_u32_e32 v8, 0x1000, v3
	v_add_u32_e32 v9, 0x1008, v3
	;; [unrolled: 1-line block ×3, first 2 shown]
	s_waitcnt lgkmcnt(1)
	v_add_u32_e32 v0, v5, v4
	s_waitcnt lgkmcnt(0)
	v_add3_u32 v0, v0, v6, v7
	global_atomic_add_x2 v2, v[0:1], s[66:67]
	ds_read2_b32 v[4:5], v8 offset1:1
	ds_read2_b32 v[6:7], v9 offset1:1
	v_add_u32_e32 v8, 0x2000, v3
	v_add_u32_e32 v9, 0x2008, v3
	s_waitcnt lgkmcnt(1)
	v_add_u32_e32 v0, v5, v4
	s_waitcnt lgkmcnt(0)
	v_add3_u32 v0, v0, v6, v7
	global_atomic_add_x2 v2, v[0:1], s[66:67] offset:2048
	ds_read2_b32 v[4:5], v8 offset1:1
	ds_read2_b32 v[6:7], v9 offset1:1
	v_or_b32_e32 v8, 0x1000, v2
	v_add_u32_e32 v9, 0x3000, v3
	s_waitcnt lgkmcnt(1)
	v_add_u32_e32 v0, v5, v4
	s_waitcnt lgkmcnt(0)
	v_add3_u32 v0, v0, v6, v7
	global_atomic_add_x2 v8, v[0:1], s[66:67]
	ds_read2_b32 v[4:5], v9 offset1:1
	ds_read2_b32 v[6:7], v10 offset1:1
	v_or_b32_e32 v8, 0x1800, v2
	v_or_b32_e32 v9, 0x4000, v3
	;; [unrolled: 1-line block ×3, first 2 shown]
	s_waitcnt lgkmcnt(1)
	v_add_u32_e32 v0, v5, v4
	s_waitcnt lgkmcnt(0)
	v_add3_u32 v0, v0, v6, v7
	global_atomic_add_x2 v8, v[0:1], s[66:67]
	ds_read2_b32 v[4:5], v9 offset1:1
	ds_read2_b32 v[6:7], v10 offset1:1
	v_or_b32_e32 v8, 0x2000, v2
	v_add_u32_e32 v9, 0x5000, v3
	v_add_u32_e32 v10, 0x5008, v3
	s_waitcnt lgkmcnt(1)
	v_add_u32_e32 v0, v5, v4
	s_waitcnt lgkmcnt(0)
	v_add3_u32 v0, v0, v6, v7
	global_atomic_add_x2 v8, v[0:1], s[66:67]
	ds_read2_b32 v[4:5], v9 offset1:1
	ds_read2_b32 v[6:7], v10 offset1:1
	v_or_b32_e32 v8, 0x2800, v2
	v_add_u32_e32 v9, 0x6000, v3
	v_add_u32_e32 v10, 0x6008, v3
	s_waitcnt lgkmcnt(1)
	v_add_u32_e32 v0, v5, v4
	s_waitcnt lgkmcnt(0)
	v_add3_u32 v0, v0, v6, v7
	global_atomic_add_x2 v8, v[0:1], s[66:67]
	ds_read2_b32 v[4:5], v9 offset1:1
	ds_read2_b32 v[6:7], v10 offset1:1
	v_or_b32_e32 v8, 0x3000, v2
	v_add_u32_e32 v9, 0x7000, v3
	v_add_u32_e32 v3, 0x7008, v3
	s_waitcnt lgkmcnt(1)
	v_add_u32_e32 v0, v5, v4
	s_waitcnt lgkmcnt(0)
	v_add3_u32 v0, v0, v6, v7
	global_atomic_add_x2 v8, v[0:1], s[66:67]
	ds_read2_b32 v[4:5], v9 offset1:1
	ds_read2_b32 v[6:7], v3 offset1:1
	v_or_b32_e32 v2, 0x3800, v2
	s_waitcnt lgkmcnt(1)
	v_add_u32_e32 v0, v5, v4
	s_waitcnt lgkmcnt(0)
	v_add3_u32 v0, v0, v6, v7
	global_atomic_add_x2 v2, v[0:1], s[66:67]
.LBB10_276:
	s_endpgm
	.section	.rodata,"a",@progbits
	.p2align	6, 0x0
	.amdhsa_kernel _ZN7rocprim17ROCPRIM_304000_NS6detail26onesweep_histograms_kernelINS1_34wrapped_radix_sort_onesweep_configINS0_14default_configElN2at4cuda3cub6detail10OpaqueTypeILi1EEEEELb1EPKlmNS0_19identity_decomposerEEEvT1_PT2_SG_SG_T3_jj
		.amdhsa_group_segment_fixed_size 32768
		.amdhsa_private_segment_fixed_size 0
		.amdhsa_kernarg_size 44
		.amdhsa_user_sgpr_count 2
		.amdhsa_user_sgpr_dispatch_ptr 0
		.amdhsa_user_sgpr_queue_ptr 0
		.amdhsa_user_sgpr_kernarg_segment_ptr 1
		.amdhsa_user_sgpr_dispatch_id 0
		.amdhsa_user_sgpr_kernarg_preload_length 0
		.amdhsa_user_sgpr_kernarg_preload_offset 0
		.amdhsa_user_sgpr_private_segment_size 0
		.amdhsa_uses_dynamic_stack 0
		.amdhsa_enable_private_segment 0
		.amdhsa_system_sgpr_workgroup_id_x 1
		.amdhsa_system_sgpr_workgroup_id_y 0
		.amdhsa_system_sgpr_workgroup_id_z 0
		.amdhsa_system_sgpr_workgroup_info 0
		.amdhsa_system_vgpr_workitem_id 0
		.amdhsa_next_free_vgpr 98
		.amdhsa_next_free_sgpr 79
		.amdhsa_accum_offset 100
		.amdhsa_reserve_vcc 1
		.amdhsa_float_round_mode_32 0
		.amdhsa_float_round_mode_16_64 0
		.amdhsa_float_denorm_mode_32 3
		.amdhsa_float_denorm_mode_16_64 3
		.amdhsa_dx10_clamp 1
		.amdhsa_ieee_mode 1
		.amdhsa_fp16_overflow 0
		.amdhsa_tg_split 0
		.amdhsa_exception_fp_ieee_invalid_op 0
		.amdhsa_exception_fp_denorm_src 0
		.amdhsa_exception_fp_ieee_div_zero 0
		.amdhsa_exception_fp_ieee_overflow 0
		.amdhsa_exception_fp_ieee_underflow 0
		.amdhsa_exception_fp_ieee_inexact 0
		.amdhsa_exception_int_div_zero 0
	.end_amdhsa_kernel
	.section	.text._ZN7rocprim17ROCPRIM_304000_NS6detail26onesweep_histograms_kernelINS1_34wrapped_radix_sort_onesweep_configINS0_14default_configElN2at4cuda3cub6detail10OpaqueTypeILi1EEEEELb1EPKlmNS0_19identity_decomposerEEEvT1_PT2_SG_SG_T3_jj,"axG",@progbits,_ZN7rocprim17ROCPRIM_304000_NS6detail26onesweep_histograms_kernelINS1_34wrapped_radix_sort_onesweep_configINS0_14default_configElN2at4cuda3cub6detail10OpaqueTypeILi1EEEEELb1EPKlmNS0_19identity_decomposerEEEvT1_PT2_SG_SG_T3_jj,comdat
.Lfunc_end10:
	.size	_ZN7rocprim17ROCPRIM_304000_NS6detail26onesweep_histograms_kernelINS1_34wrapped_radix_sort_onesweep_configINS0_14default_configElN2at4cuda3cub6detail10OpaqueTypeILi1EEEEELb1EPKlmNS0_19identity_decomposerEEEvT1_PT2_SG_SG_T3_jj, .Lfunc_end10-_ZN7rocprim17ROCPRIM_304000_NS6detail26onesweep_histograms_kernelINS1_34wrapped_radix_sort_onesweep_configINS0_14default_configElN2at4cuda3cub6detail10OpaqueTypeILi1EEEEELb1EPKlmNS0_19identity_decomposerEEEvT1_PT2_SG_SG_T3_jj
                                        ; -- End function
	.section	.AMDGPU.csdata,"",@progbits
; Kernel info:
; codeLenInByte = 17016
; NumSgprs: 85
; NumVgprs: 98
; NumAgprs: 0
; TotalNumVgprs: 98
; ScratchSize: 0
; MemoryBound: 0
; FloatMode: 240
; IeeeMode: 1
; LDSByteSize: 32768 bytes/workgroup (compile time only)
; SGPRBlocks: 10
; VGPRBlocks: 12
; NumSGPRsForWavesPerEU: 85
; NumVGPRsForWavesPerEU: 98
; AccumOffset: 100
; Occupancy: 4
; WaveLimiterHint : 1
; COMPUTE_PGM_RSRC2:SCRATCH_EN: 0
; COMPUTE_PGM_RSRC2:USER_SGPR: 2
; COMPUTE_PGM_RSRC2:TRAP_HANDLER: 0
; COMPUTE_PGM_RSRC2:TGID_X_EN: 1
; COMPUTE_PGM_RSRC2:TGID_Y_EN: 0
; COMPUTE_PGM_RSRC2:TGID_Z_EN: 0
; COMPUTE_PGM_RSRC2:TIDIG_COMP_CNT: 0
; COMPUTE_PGM_RSRC3_GFX90A:ACCUM_OFFSET: 24
; COMPUTE_PGM_RSRC3_GFX90A:TG_SPLIT: 0
	.section	.text._ZN7rocprim17ROCPRIM_304000_NS6detail31onesweep_scan_histograms_kernelINS1_34wrapped_radix_sort_onesweep_configINS0_14default_configElN2at4cuda3cub6detail10OpaqueTypeILi1EEEEEmEEvPT0_,"axG",@progbits,_ZN7rocprim17ROCPRIM_304000_NS6detail31onesweep_scan_histograms_kernelINS1_34wrapped_radix_sort_onesweep_configINS0_14default_configElN2at4cuda3cub6detail10OpaqueTypeILi1EEEEEmEEvPT0_,comdat
	.protected	_ZN7rocprim17ROCPRIM_304000_NS6detail31onesweep_scan_histograms_kernelINS1_34wrapped_radix_sort_onesweep_configINS0_14default_configElN2at4cuda3cub6detail10OpaqueTypeILi1EEEEEmEEvPT0_ ; -- Begin function _ZN7rocprim17ROCPRIM_304000_NS6detail31onesweep_scan_histograms_kernelINS1_34wrapped_radix_sort_onesweep_configINS0_14default_configElN2at4cuda3cub6detail10OpaqueTypeILi1EEEEEmEEvPT0_
	.globl	_ZN7rocprim17ROCPRIM_304000_NS6detail31onesweep_scan_histograms_kernelINS1_34wrapped_radix_sort_onesweep_configINS0_14default_configElN2at4cuda3cub6detail10OpaqueTypeILi1EEEEEmEEvPT0_
	.p2align	8
	.type	_ZN7rocprim17ROCPRIM_304000_NS6detail31onesweep_scan_histograms_kernelINS1_34wrapped_radix_sort_onesweep_configINS0_14default_configElN2at4cuda3cub6detail10OpaqueTypeILi1EEEEEmEEvPT0_,@function
_ZN7rocprim17ROCPRIM_304000_NS6detail31onesweep_scan_histograms_kernelINS1_34wrapped_radix_sort_onesweep_configINS0_14default_configElN2at4cuda3cub6detail10OpaqueTypeILi1EEEEEmEEvPT0_: ; @_ZN7rocprim17ROCPRIM_304000_NS6detail31onesweep_scan_histograms_kernelINS1_34wrapped_radix_sort_onesweep_configINS0_14default_configElN2at4cuda3cub6detail10OpaqueTypeILi1EEEEEmEEvPT0_
; %bb.0:
	s_load_dwordx2 s[0:1], s[0:1], 0x0
	s_lshl_b32 s2, s2, 8
	s_mov_b32 s3, 0
	s_lshl_b64 s[2:3], s[2:3], 3
	v_lshlrev_b32_e32 v8, 3, v0
	s_waitcnt lgkmcnt(0)
	s_add_u32 s14, s0, s2
	s_movk_i32 s0, 0x100
	s_addc_u32 s15, s1, s3
	v_cmp_gt_u32_e32 vcc, s0, v0
                                        ; implicit-def: $vgpr2_vgpr3
	s_and_saveexec_b64 s[0:1], vcc
	s_cbranch_execz .LBB11_2
; %bb.1:
	global_load_dwordx2 v[2:3], v8, s[14:15]
.LBB11_2:
	s_or_b64 exec, exec, s[0:1]
	v_mov_b32_e32 v4, 0
	v_mbcnt_lo_u32_b32 v1, -1, 0
	v_mbcnt_hi_u32_b32 v9, -1, v1
	s_waitcnt vmcnt(0)
	v_mov_b32_dpp v6, v2 row_shr:1 row_mask:0xf bank_mask:0xf
	v_mov_b32_e32 v7, v4
	v_and_b32_e32 v1, 15, v9
	v_mov_b32_dpp v5, v3 row_shr:1 row_mask:0xf bank_mask:0xf
	v_lshl_add_u64 v[6:7], v[2:3], 0, v[6:7]
	v_lshl_add_u64 v[4:5], v[4:5], 0, v[6:7]
	v_cmp_eq_u32_e64 s[4:5], 0, v1
	v_cmp_lt_u32_e64 s[6:7], 1, v1
	v_cmp_lt_u32_e64 s[2:3], 3, v1
	v_cndmask_b32_e64 v10, v6, v2, s[4:5]
	v_cndmask_b32_e64 v5, v5, v3, s[4:5]
	v_cndmask_b32_e64 v4, v4, v2, s[4:5]
	v_mov_b32_dpp v6, v10 row_shr:2 row_mask:0xf bank_mask:0xf
	v_mov_b32_dpp v7, v5 row_shr:2 row_mask:0xf bank_mask:0xf
	v_lshl_add_u64 v[6:7], v[6:7], 0, v[4:5]
	v_cndmask_b32_e64 v10, v10, v6, s[6:7]
	v_cndmask_b32_e64 v5, v5, v7, s[6:7]
	v_cndmask_b32_e64 v4, v4, v6, s[6:7]
	v_mov_b32_dpp v6, v10 row_shr:4 row_mask:0xf bank_mask:0xf
	v_mov_b32_dpp v7, v5 row_shr:4 row_mask:0xf bank_mask:0xf
	v_lshl_add_u64 v[6:7], v[6:7], 0, v[4:5]
	;; [unrolled: 6-line block ×3, first 2 shown]
	v_cmp_lt_u32_e64 s[8:9], 7, v1
	v_cmp_eq_u32_e64 s[0:1], 0, v9
	v_cmp_ne_u32_e64 s[12:13], 0, v9
	v_cndmask_b32_e64 v1, v10, v6, s[8:9]
	v_cndmask_b32_e64 v5, v5, v7, s[8:9]
	;; [unrolled: 1-line block ×3, first 2 shown]
	v_mov_b32_dpp v6, v1 row_bcast:15 row_mask:0xf bank_mask:0xf
	v_mov_b32_dpp v7, v5 row_bcast:15 row_mask:0xf bank_mask:0xf
	v_and_b32_e32 v10, 16, v9
	v_lshl_add_u64 v[6:7], v[6:7], 0, v[4:5]
	v_cmp_eq_u32_e64 s[10:11], 0, v10
	s_nop 1
	v_cndmask_b32_e64 v10, v7, v5, s[10:11]
	v_cndmask_b32_e64 v1, v6, v1, s[10:11]
	s_nop 0
	v_mov_b32_dpp v10, v10 row_bcast:31 row_mask:0xf bank_mask:0xf
	v_mov_b32_dpp v1, v1 row_bcast:31 row_mask:0xf bank_mask:0xf
	s_and_saveexec_b64 s[16:17], s[12:13]
; %bb.3:
	v_cndmask_b32_e64 v3, v7, v5, s[10:11]
	v_cndmask_b32_e64 v2, v6, v4, s[10:11]
	v_cmp_lt_u32_e64 s[10:11], 31, v9
	s_nop 1
	v_cndmask_b32_e64 v5, 0, v10, s[10:11]
	v_cndmask_b32_e64 v4, 0, v1, s[10:11]
	v_lshl_add_u64 v[2:3], v[4:5], 0, v[2:3]
; %bb.4:
	s_or_b64 exec, exec, s[16:17]
	v_and_b32_e32 v1, 63, v0
	v_lshrrev_b32_e32 v4, 6, v0
	v_cmp_eq_u32_e64 s[10:11], 63, v1
	s_and_saveexec_b64 s[12:13], s[10:11]
	s_cbranch_execz .LBB11_6
; %bb.5:
	v_lshlrev_b32_e32 v1, 3, v4
	ds_write_b64 v1, v[2:3]
.LBB11_6:
	s_or_b64 exec, exec, s[12:13]
	v_cmp_gt_u32_e64 s[10:11], 16, v0
	s_waitcnt lgkmcnt(0)
	s_barrier
	s_and_saveexec_b64 s[12:13], s[10:11]
	s_cbranch_execz .LBB11_8
; %bb.7:
	ds_read_b64 v[6:7], v8
	v_mov_b32_e32 v10, 0
	v_mov_b32_e32 v13, v10
	s_waitcnt lgkmcnt(0)
	v_mov_b32_dpp v12, v6 row_shr:1 row_mask:0xf bank_mask:0xf
	v_mov_b32_dpp v11, v7 row_shr:1 row_mask:0xf bank_mask:0xf
	v_lshl_add_u64 v[12:13], v[6:7], 0, v[12:13]
	v_lshl_add_u64 v[14:15], v[10:11], 0, v[12:13]
	v_cndmask_b32_e64 v1, v12, v6, s[4:5]
	v_cndmask_b32_e64 v15, v15, v7, s[4:5]
	;; [unrolled: 1-line block ×3, first 2 shown]
	v_mov_b32_dpp v6, v1 row_shr:2 row_mask:0xf bank_mask:0xf
	v_mov_b32_e32 v7, v10
	v_mov_b32_dpp v11, v15 row_shr:2 row_mask:0xf bank_mask:0xf
	v_lshl_add_u64 v[6:7], v[14:15], 0, v[6:7]
	v_lshl_add_u64 v[12:13], v[6:7], 0, v[10:11]
	v_cndmask_b32_e64 v1, v1, v6, s[6:7]
	v_cndmask_b32_e64 v7, v15, v13, s[6:7]
	;; [unrolled: 1-line block ×3, first 2 shown]
	v_mov_b32_dpp v12, v1 row_shr:4 row_mask:0xf bank_mask:0xf
	v_mov_b32_e32 v13, v10
	v_mov_b32_dpp v11, v7 row_shr:4 row_mask:0xf bank_mask:0xf
	v_lshl_add_u64 v[12:13], v[6:7], 0, v[12:13]
	v_lshl_add_u64 v[10:11], v[12:13], 0, v[10:11]
	v_cndmask_b32_e64 v7, v7, v11, s[2:3]
	v_cndmask_b32_e64 v1, v1, v12, s[2:3]
	;; [unrolled: 1-line block ×3, first 2 shown]
	v_mov_b32_dpp v5, v7 row_shr:8 row_mask:0xf bank_mask:0xf
	v_mov_b32_dpp v1, v1 row_shr:8 row_mask:0xf bank_mask:0xf
	v_cndmask_b32_e64 v10, 0, v1, s[8:9]
	v_cndmask_b32_e64 v11, 0, v5, s[8:9]
	v_lshl_add_u64 v[6:7], v[10:11], 0, v[6:7]
	ds_write_b64 v8, v[6:7]
.LBB11_8:
	s_or_b64 exec, exec, s[12:13]
	v_cmp_lt_u32_e64 s[2:3], 63, v0
	v_mov_b64_e32 v[0:1], 0
	s_waitcnt lgkmcnt(0)
	s_barrier
	s_and_saveexec_b64 s[4:5], s[2:3]
	s_cbranch_execz .LBB11_10
; %bb.9:
	v_lshl_add_u32 v0, v4, 3, -8
	ds_read_b64 v[0:1], v0
.LBB11_10:
	s_or_b64 exec, exec, s[4:5]
	v_add_u32_e32 v4, -1, v9
	v_and_b32_e32 v5, 64, v9
	v_cmp_lt_i32_e64 s[2:3], v4, v5
	s_waitcnt lgkmcnt(0)
	v_lshl_add_u64 v[2:3], v[0:1], 0, v[2:3]
	v_cndmask_b32_e64 v4, v4, v9, s[2:3]
	v_lshlrev_b32_e32 v4, 2, v4
	ds_bpermute_b32 v2, v4, v2
	ds_bpermute_b32 v3, v4, v3
	s_and_saveexec_b64 s[2:3], vcc
	s_cbranch_execz .LBB11_12
; %bb.11:
	s_waitcnt lgkmcnt(0)
	v_cndmask_b32_e64 v1, v3, v1, s[0:1]
	v_cndmask_b32_e64 v0, v2, v0, s[0:1]
	global_store_dwordx2 v8, v[0:1], s[14:15]
.LBB11_12:
	s_endpgm
	.section	.rodata,"a",@progbits
	.p2align	6, 0x0
	.amdhsa_kernel _ZN7rocprim17ROCPRIM_304000_NS6detail31onesweep_scan_histograms_kernelINS1_34wrapped_radix_sort_onesweep_configINS0_14default_configElN2at4cuda3cub6detail10OpaqueTypeILi1EEEEEmEEvPT0_
		.amdhsa_group_segment_fixed_size 128
		.amdhsa_private_segment_fixed_size 0
		.amdhsa_kernarg_size 8
		.amdhsa_user_sgpr_count 2
		.amdhsa_user_sgpr_dispatch_ptr 0
		.amdhsa_user_sgpr_queue_ptr 0
		.amdhsa_user_sgpr_kernarg_segment_ptr 1
		.amdhsa_user_sgpr_dispatch_id 0
		.amdhsa_user_sgpr_kernarg_preload_length 0
		.amdhsa_user_sgpr_kernarg_preload_offset 0
		.amdhsa_user_sgpr_private_segment_size 0
		.amdhsa_uses_dynamic_stack 0
		.amdhsa_enable_private_segment 0
		.amdhsa_system_sgpr_workgroup_id_x 1
		.amdhsa_system_sgpr_workgroup_id_y 0
		.amdhsa_system_sgpr_workgroup_id_z 0
		.amdhsa_system_sgpr_workgroup_info 0
		.amdhsa_system_vgpr_workitem_id 0
		.amdhsa_next_free_vgpr 16
		.amdhsa_next_free_sgpr 18
		.amdhsa_accum_offset 16
		.amdhsa_reserve_vcc 1
		.amdhsa_float_round_mode_32 0
		.amdhsa_float_round_mode_16_64 0
		.amdhsa_float_denorm_mode_32 3
		.amdhsa_float_denorm_mode_16_64 3
		.amdhsa_dx10_clamp 1
		.amdhsa_ieee_mode 1
		.amdhsa_fp16_overflow 0
		.amdhsa_tg_split 0
		.amdhsa_exception_fp_ieee_invalid_op 0
		.amdhsa_exception_fp_denorm_src 0
		.amdhsa_exception_fp_ieee_div_zero 0
		.amdhsa_exception_fp_ieee_overflow 0
		.amdhsa_exception_fp_ieee_underflow 0
		.amdhsa_exception_fp_ieee_inexact 0
		.amdhsa_exception_int_div_zero 0
	.end_amdhsa_kernel
	.section	.text._ZN7rocprim17ROCPRIM_304000_NS6detail31onesweep_scan_histograms_kernelINS1_34wrapped_radix_sort_onesweep_configINS0_14default_configElN2at4cuda3cub6detail10OpaqueTypeILi1EEEEEmEEvPT0_,"axG",@progbits,_ZN7rocprim17ROCPRIM_304000_NS6detail31onesweep_scan_histograms_kernelINS1_34wrapped_radix_sort_onesweep_configINS0_14default_configElN2at4cuda3cub6detail10OpaqueTypeILi1EEEEEmEEvPT0_,comdat
.Lfunc_end11:
	.size	_ZN7rocprim17ROCPRIM_304000_NS6detail31onesweep_scan_histograms_kernelINS1_34wrapped_radix_sort_onesweep_configINS0_14default_configElN2at4cuda3cub6detail10OpaqueTypeILi1EEEEEmEEvPT0_, .Lfunc_end11-_ZN7rocprim17ROCPRIM_304000_NS6detail31onesweep_scan_histograms_kernelINS1_34wrapped_radix_sort_onesweep_configINS0_14default_configElN2at4cuda3cub6detail10OpaqueTypeILi1EEEEEmEEvPT0_
                                        ; -- End function
	.section	.AMDGPU.csdata,"",@progbits
; Kernel info:
; codeLenInByte = 936
; NumSgprs: 24
; NumVgprs: 16
; NumAgprs: 0
; TotalNumVgprs: 16
; ScratchSize: 0
; MemoryBound: 0
; FloatMode: 240
; IeeeMode: 1
; LDSByteSize: 128 bytes/workgroup (compile time only)
; SGPRBlocks: 2
; VGPRBlocks: 1
; NumSGPRsForWavesPerEU: 24
; NumVGPRsForWavesPerEU: 16
; AccumOffset: 16
; Occupancy: 8
; WaveLimiterHint : 0
; COMPUTE_PGM_RSRC2:SCRATCH_EN: 0
; COMPUTE_PGM_RSRC2:USER_SGPR: 2
; COMPUTE_PGM_RSRC2:TRAP_HANDLER: 0
; COMPUTE_PGM_RSRC2:TGID_X_EN: 1
; COMPUTE_PGM_RSRC2:TGID_Y_EN: 0
; COMPUTE_PGM_RSRC2:TGID_Z_EN: 0
; COMPUTE_PGM_RSRC2:TIDIG_COMP_CNT: 0
; COMPUTE_PGM_RSRC3_GFX90A:ACCUM_OFFSET: 3
; COMPUTE_PGM_RSRC3_GFX90A:TG_SPLIT: 0
	.section	.text._ZN7rocprim17ROCPRIM_304000_NS6detail16transform_kernelINS1_24wrapped_transform_configINS0_14default_configElEElPKlPlNS0_8identityIlEEEEvT1_mT2_T3_,"axG",@progbits,_ZN7rocprim17ROCPRIM_304000_NS6detail16transform_kernelINS1_24wrapped_transform_configINS0_14default_configElEElPKlPlNS0_8identityIlEEEEvT1_mT2_T3_,comdat
	.protected	_ZN7rocprim17ROCPRIM_304000_NS6detail16transform_kernelINS1_24wrapped_transform_configINS0_14default_configElEElPKlPlNS0_8identityIlEEEEvT1_mT2_T3_ ; -- Begin function _ZN7rocprim17ROCPRIM_304000_NS6detail16transform_kernelINS1_24wrapped_transform_configINS0_14default_configElEElPKlPlNS0_8identityIlEEEEvT1_mT2_T3_
	.globl	_ZN7rocprim17ROCPRIM_304000_NS6detail16transform_kernelINS1_24wrapped_transform_configINS0_14default_configElEElPKlPlNS0_8identityIlEEEEvT1_mT2_T3_
	.p2align	8
	.type	_ZN7rocprim17ROCPRIM_304000_NS6detail16transform_kernelINS1_24wrapped_transform_configINS0_14default_configElEElPKlPlNS0_8identityIlEEEEvT1_mT2_T3_,@function
_ZN7rocprim17ROCPRIM_304000_NS6detail16transform_kernelINS1_24wrapped_transform_configINS0_14default_configElEElPKlPlNS0_8identityIlEEEEvT1_mT2_T3_: ; @_ZN7rocprim17ROCPRIM_304000_NS6detail16transform_kernelINS1_24wrapped_transform_configINS0_14default_configElEElPKlPlNS0_8identityIlEEEEvT1_mT2_T3_
; %bb.0:
	s_load_dword s3, s[0:1], 0x20
	s_load_dwordx4 s[4:7], s[0:1], 0x0
	s_load_dwordx2 s[8:9], s[0:1], 0x10
	s_lshl_b32 s0, s2, 9
	s_mov_b32 s1, 0
	s_waitcnt lgkmcnt(0)
	s_add_i32 s3, s3, -1
	s_lshl_b64 s[10:11], s[0:1], 3
	s_add_u32 s4, s4, s10
	s_addc_u32 s5, s5, s11
	v_mov_b32_e32 v7, 0
	v_lshlrev_b32_e32 v6, 3, v0
	s_cmp_lg_u32 s2, s3
	v_lshl_add_u64 v[8:9], s[4:5], 0, v[6:7]
	s_cbranch_scc0 .LBB12_2
; %bb.1:
	global_load_dwordx2 v[2:3], v[8:9], off
	global_load_dwordx2 v[4:5], v[8:9], off offset:2048
	s_add_u32 s2, s8, s10
	s_addc_u32 s3, s9, s11
	s_waitcnt vmcnt(1)
	global_store_dwordx2 v6, v[2:3], s[2:3]
	s_mov_b64 s[2:3], -1
	s_cbranch_execz .LBB12_3
	s_branch .LBB12_10
.LBB12_2:
	s_mov_b64 s[2:3], 0
                                        ; implicit-def: $vgpr4_vgpr5
.LBB12_3:
	s_sub_i32 s4, s6, s0
	v_cmp_gt_u32_e32 vcc, s4, v0
                                        ; implicit-def: $vgpr2_vgpr3_vgpr4_vgpr5
	s_and_saveexec_b64 s[0:1], vcc
	s_cbranch_execz .LBB12_5
; %bb.4:
	global_load_dwordx2 v[2:3], v[8:9], off
.LBB12_5:
	s_or_b64 exec, exec, s[0:1]
	v_or_b32_e32 v0, 0x100, v0
	v_cmp_gt_u32_e64 s[0:1], s4, v0
	s_and_saveexec_b64 s[4:5], s[0:1]
	s_cbranch_execnz .LBB12_13
; %bb.6:
	s_or_b64 exec, exec, s[4:5]
	s_and_saveexec_b64 s[4:5], vcc
	s_cbranch_execnz .LBB12_14
.LBB12_7:
	s_or_b64 exec, exec, s[4:5]
	s_and_saveexec_b64 s[4:5], s[0:1]
.LBB12_8:
	s_or_b64 s[2:3], s[2:3], exec
.LBB12_9:
	s_or_b64 exec, exec, s[4:5]
.LBB12_10:
	s_and_saveexec_b64 s[0:1], s[2:3]
	s_cbranch_execnz .LBB12_12
; %bb.11:
	s_endpgm
.LBB12_12:
	s_add_u32 s0, s8, s10
	s_addc_u32 s1, s9, s11
	s_waitcnt vmcnt(0)
	global_store_dwordx2 v6, v[4:5], s[0:1] offset:2048
	s_endpgm
.LBB12_13:
	global_load_dwordx2 v[4:5], v[8:9], off offset:2048
	s_or_b64 exec, exec, s[4:5]
	s_and_saveexec_b64 s[4:5], vcc
	s_cbranch_execz .LBB12_7
.LBB12_14:
	s_add_u32 s6, s8, s10
	s_addc_u32 s7, s9, s11
	s_waitcnt vmcnt(0)
	global_store_dwordx2 v6, v[2:3], s[6:7]
	s_or_b64 exec, exec, s[4:5]
	s_and_saveexec_b64 s[4:5], s[0:1]
	s_cbranch_execnz .LBB12_8
	s_branch .LBB12_9
	.section	.rodata,"a",@progbits
	.p2align	6, 0x0
	.amdhsa_kernel _ZN7rocprim17ROCPRIM_304000_NS6detail16transform_kernelINS1_24wrapped_transform_configINS0_14default_configElEElPKlPlNS0_8identityIlEEEEvT1_mT2_T3_
		.amdhsa_group_segment_fixed_size 0
		.amdhsa_private_segment_fixed_size 0
		.amdhsa_kernarg_size 288
		.amdhsa_user_sgpr_count 2
		.amdhsa_user_sgpr_dispatch_ptr 0
		.amdhsa_user_sgpr_queue_ptr 0
		.amdhsa_user_sgpr_kernarg_segment_ptr 1
		.amdhsa_user_sgpr_dispatch_id 0
		.amdhsa_user_sgpr_kernarg_preload_length 0
		.amdhsa_user_sgpr_kernarg_preload_offset 0
		.amdhsa_user_sgpr_private_segment_size 0
		.amdhsa_uses_dynamic_stack 0
		.amdhsa_enable_private_segment 0
		.amdhsa_system_sgpr_workgroup_id_x 1
		.amdhsa_system_sgpr_workgroup_id_y 0
		.amdhsa_system_sgpr_workgroup_id_z 0
		.amdhsa_system_sgpr_workgroup_info 0
		.amdhsa_system_vgpr_workitem_id 0
		.amdhsa_next_free_vgpr 10
		.amdhsa_next_free_sgpr 12
		.amdhsa_accum_offset 12
		.amdhsa_reserve_vcc 1
		.amdhsa_float_round_mode_32 0
		.amdhsa_float_round_mode_16_64 0
		.amdhsa_float_denorm_mode_32 3
		.amdhsa_float_denorm_mode_16_64 3
		.amdhsa_dx10_clamp 1
		.amdhsa_ieee_mode 1
		.amdhsa_fp16_overflow 0
		.amdhsa_tg_split 0
		.amdhsa_exception_fp_ieee_invalid_op 0
		.amdhsa_exception_fp_denorm_src 0
		.amdhsa_exception_fp_ieee_div_zero 0
		.amdhsa_exception_fp_ieee_overflow 0
		.amdhsa_exception_fp_ieee_underflow 0
		.amdhsa_exception_fp_ieee_inexact 0
		.amdhsa_exception_int_div_zero 0
	.end_amdhsa_kernel
	.section	.text._ZN7rocprim17ROCPRIM_304000_NS6detail16transform_kernelINS1_24wrapped_transform_configINS0_14default_configElEElPKlPlNS0_8identityIlEEEEvT1_mT2_T3_,"axG",@progbits,_ZN7rocprim17ROCPRIM_304000_NS6detail16transform_kernelINS1_24wrapped_transform_configINS0_14default_configElEElPKlPlNS0_8identityIlEEEEvT1_mT2_T3_,comdat
.Lfunc_end12:
	.size	_ZN7rocprim17ROCPRIM_304000_NS6detail16transform_kernelINS1_24wrapped_transform_configINS0_14default_configElEElPKlPlNS0_8identityIlEEEEvT1_mT2_T3_, .Lfunc_end12-_ZN7rocprim17ROCPRIM_304000_NS6detail16transform_kernelINS1_24wrapped_transform_configINS0_14default_configElEElPKlPlNS0_8identityIlEEEEvT1_mT2_T3_
                                        ; -- End function
	.section	.AMDGPU.csdata,"",@progbits
; Kernel info:
; codeLenInByte = 300
; NumSgprs: 18
; NumVgprs: 10
; NumAgprs: 0
; TotalNumVgprs: 10
; ScratchSize: 0
; MemoryBound: 1
; FloatMode: 240
; IeeeMode: 1
; LDSByteSize: 0 bytes/workgroup (compile time only)
; SGPRBlocks: 2
; VGPRBlocks: 1
; NumSGPRsForWavesPerEU: 18
; NumVGPRsForWavesPerEU: 10
; AccumOffset: 12
; Occupancy: 8
; WaveLimiterHint : 1
; COMPUTE_PGM_RSRC2:SCRATCH_EN: 0
; COMPUTE_PGM_RSRC2:USER_SGPR: 2
; COMPUTE_PGM_RSRC2:TRAP_HANDLER: 0
; COMPUTE_PGM_RSRC2:TGID_X_EN: 1
; COMPUTE_PGM_RSRC2:TGID_Y_EN: 0
; COMPUTE_PGM_RSRC2:TGID_Z_EN: 0
; COMPUTE_PGM_RSRC2:TIDIG_COMP_CNT: 0
; COMPUTE_PGM_RSRC3_GFX90A:ACCUM_OFFSET: 2
; COMPUTE_PGM_RSRC3_GFX90A:TG_SPLIT: 0
	.section	.text._ZN7rocprim17ROCPRIM_304000_NS6detail16transform_kernelINS1_24wrapped_transform_configINS0_14default_configEN2at4cuda3cub6detail10OpaqueTypeILi1EEEEESA_PKSA_PSA_NS0_8identityISA_EEEEvT1_mT2_T3_,"axG",@progbits,_ZN7rocprim17ROCPRIM_304000_NS6detail16transform_kernelINS1_24wrapped_transform_configINS0_14default_configEN2at4cuda3cub6detail10OpaqueTypeILi1EEEEESA_PKSA_PSA_NS0_8identityISA_EEEEvT1_mT2_T3_,comdat
	.protected	_ZN7rocprim17ROCPRIM_304000_NS6detail16transform_kernelINS1_24wrapped_transform_configINS0_14default_configEN2at4cuda3cub6detail10OpaqueTypeILi1EEEEESA_PKSA_PSA_NS0_8identityISA_EEEEvT1_mT2_T3_ ; -- Begin function _ZN7rocprim17ROCPRIM_304000_NS6detail16transform_kernelINS1_24wrapped_transform_configINS0_14default_configEN2at4cuda3cub6detail10OpaqueTypeILi1EEEEESA_PKSA_PSA_NS0_8identityISA_EEEEvT1_mT2_T3_
	.globl	_ZN7rocprim17ROCPRIM_304000_NS6detail16transform_kernelINS1_24wrapped_transform_configINS0_14default_configEN2at4cuda3cub6detail10OpaqueTypeILi1EEEEESA_PKSA_PSA_NS0_8identityISA_EEEEvT1_mT2_T3_
	.p2align	8
	.type	_ZN7rocprim17ROCPRIM_304000_NS6detail16transform_kernelINS1_24wrapped_transform_configINS0_14default_configEN2at4cuda3cub6detail10OpaqueTypeILi1EEEEESA_PKSA_PSA_NS0_8identityISA_EEEEvT1_mT2_T3_,@function
_ZN7rocprim17ROCPRIM_304000_NS6detail16transform_kernelINS1_24wrapped_transform_configINS0_14default_configEN2at4cuda3cub6detail10OpaqueTypeILi1EEEEESA_PKSA_PSA_NS0_8identityISA_EEEEvT1_mT2_T3_: ; @_ZN7rocprim17ROCPRIM_304000_NS6detail16transform_kernelINS1_24wrapped_transform_configINS0_14default_configEN2at4cuda3cub6detail10OpaqueTypeILi1EEEEESA_PKSA_PSA_NS0_8identityISA_EEEEvT1_mT2_T3_
; %bb.0:
	s_load_dword s3, s[0:1], 0x20
	s_load_dwordx4 s[4:7], s[0:1], 0x0
	s_load_dwordx2 s[28:29], s[0:1], 0x10
	s_lshl_b32 s33, s2, 12
	v_mov_b32_e32 v1, 0
	s_waitcnt lgkmcnt(0)
	s_add_i32 s3, s3, -1
	s_add_u32 s0, s4, s33
	s_addc_u32 s1, s5, 0
	s_cmp_lg_u32 s2, s3
	v_lshl_add_u64 v[2:3], s[0:1], 0, v[0:1]
	s_cbranch_scc0 .LBB13_2
; %bb.1:
	global_load_ubyte v7, v[2:3], off
	global_load_ubyte v8, v[2:3], off offset:256
	global_load_ubyte v9, v[2:3], off offset:512
	;; [unrolled: 1-line block ×15, first 2 shown]
	s_add_u32 s2, s28, s33
	s_addc_u32 s3, s29, 0
	v_lshl_add_u64 v[4:5], s[2:3], 0, v[0:1]
	s_mov_b64 s[30:31], -1
	s_waitcnt vmcnt(15)
	global_store_byte v[4:5], v7, off
	s_waitcnt vmcnt(15)
	global_store_byte v[4:5], v8, off offset:256
	s_waitcnt vmcnt(15)
	global_store_byte v[4:5], v9, off offset:512
	;; [unrolled: 2-line block ×14, first 2 shown]
	s_cbranch_execz .LBB13_3
	s_branch .LBB13_52
.LBB13_2:
	s_mov_b64 s[30:31], 0
                                        ; implicit-def: $vgpr6
.LBB13_3:
	s_sub_i32 s34, s6, s33
	v_cmp_gt_u32_e32 vcc, s34, v0
                                        ; implicit-def: $vgpr4
	s_and_saveexec_b64 s[0:1], vcc
	s_cbranch_execz .LBB13_5
; %bb.4:
	global_load_ubyte v4, v[2:3], off
.LBB13_5:
	s_or_b64 exec, exec, s[0:1]
	v_or_b32_e32 v5, 0x100, v0
	v_cmp_gt_u32_e64 s[0:1], s34, v5
                                        ; implicit-def: $vgpr5
	s_and_saveexec_b64 s[2:3], s[0:1]
	s_cbranch_execz .LBB13_7
; %bb.6:
	global_load_ubyte v5, v[2:3], off offset:256
.LBB13_7:
	s_or_b64 exec, exec, s[2:3]
	s_waitcnt vmcnt(15)
	v_or_b32_e32 v6, 0x200, v0
	v_cmp_gt_u32_e64 s[2:3], s34, v6
                                        ; implicit-def: $vgpr7
	s_and_saveexec_b64 s[4:5], s[2:3]
	s_cbranch_execz .LBB13_9
; %bb.8:
	global_load_ubyte v7, v[2:3], off offset:512
.LBB13_9:
	s_or_b64 exec, exec, s[4:5]
	v_or_b32_e32 v6, 0x300, v0
	v_cmp_gt_u32_e64 s[4:5], s34, v6
                                        ; implicit-def: $vgpr8
	s_and_saveexec_b64 s[6:7], s[4:5]
	s_cbranch_execz .LBB13_11
; %bb.10:
	global_load_ubyte v8, v[2:3], off offset:768
.LBB13_11:
	s_or_b64 exec, exec, s[6:7]
	v_or_b32_e32 v6, 0x400, v0
	v_cmp_gt_u32_e64 s[6:7], s34, v6
                                        ; implicit-def: $vgpr9
	s_and_saveexec_b64 s[8:9], s[6:7]
	s_cbranch_execz .LBB13_13
; %bb.12:
	global_load_ubyte v9, v[2:3], off offset:1024
.LBB13_13:
	s_or_b64 exec, exec, s[8:9]
	v_or_b32_e32 v6, 0x500, v0
	v_cmp_gt_u32_e64 s[8:9], s34, v6
                                        ; implicit-def: $vgpr10
	s_and_saveexec_b64 s[10:11], s[8:9]
	s_cbranch_execz .LBB13_15
; %bb.14:
	global_load_ubyte v10, v[2:3], off offset:1280
.LBB13_15:
	s_or_b64 exec, exec, s[10:11]
	v_or_b32_e32 v6, 0x600, v0
	v_cmp_gt_u32_e64 s[10:11], s34, v6
                                        ; implicit-def: $vgpr11
	s_and_saveexec_b64 s[12:13], s[10:11]
	s_cbranch_execz .LBB13_17
; %bb.16:
	global_load_ubyte v11, v[2:3], off offset:1536
.LBB13_17:
	s_or_b64 exec, exec, s[12:13]
	v_or_b32_e32 v6, 0x700, v0
	v_cmp_gt_u32_e64 s[12:13], s34, v6
                                        ; implicit-def: $vgpr12
	s_and_saveexec_b64 s[14:15], s[12:13]
	s_cbranch_execz .LBB13_19
; %bb.18:
	global_load_ubyte v12, v[2:3], off offset:1792
.LBB13_19:
	s_or_b64 exec, exec, s[14:15]
	v_or_b32_e32 v6, 0x800, v0
	v_cmp_gt_u32_e64 s[14:15], s34, v6
                                        ; implicit-def: $vgpr13
	s_and_saveexec_b64 s[16:17], s[14:15]
	s_cbranch_execz .LBB13_21
; %bb.20:
	global_load_ubyte v13, v[2:3], off offset:2048
.LBB13_21:
	s_or_b64 exec, exec, s[16:17]
	v_or_b32_e32 v6, 0x900, v0
	v_cmp_gt_u32_e64 s[16:17], s34, v6
                                        ; implicit-def: $vgpr14
	s_and_saveexec_b64 s[18:19], s[16:17]
	s_cbranch_execz .LBB13_23
; %bb.22:
	global_load_ubyte v14, v[2:3], off offset:2304
.LBB13_23:
	s_or_b64 exec, exec, s[18:19]
	v_or_b32_e32 v6, 0xa00, v0
	v_cmp_gt_u32_e64 s[18:19], s34, v6
                                        ; implicit-def: $vgpr15
	s_and_saveexec_b64 s[20:21], s[18:19]
	s_cbranch_execz .LBB13_25
; %bb.24:
	global_load_ubyte v15, v[2:3], off offset:2560
.LBB13_25:
	s_or_b64 exec, exec, s[20:21]
	v_or_b32_e32 v6, 0xb00, v0
	v_cmp_gt_u32_e64 s[20:21], s34, v6
                                        ; implicit-def: $vgpr16
	s_and_saveexec_b64 s[22:23], s[20:21]
	s_cbranch_execz .LBB13_27
; %bb.26:
	global_load_ubyte v16, v[2:3], off offset:2816
.LBB13_27:
	s_or_b64 exec, exec, s[22:23]
	v_or_b32_e32 v6, 0xc00, v0
	v_cmp_gt_u32_e64 s[22:23], s34, v6
                                        ; implicit-def: $vgpr17
	s_and_saveexec_b64 s[24:25], s[22:23]
	s_cbranch_execz .LBB13_29
; %bb.28:
	global_load_ubyte v17, v[2:3], off offset:3072
.LBB13_29:
	s_or_b64 exec, exec, s[24:25]
	v_or_b32_e32 v6, 0xd00, v0
	v_cmp_gt_u32_e64 s[24:25], s34, v6
                                        ; implicit-def: $vgpr18
	s_and_saveexec_b64 s[26:27], s[24:25]
	s_cbranch_execz .LBB13_31
; %bb.30:
	global_load_ubyte v18, v[2:3], off offset:3328
.LBB13_31:
	s_or_b64 exec, exec, s[26:27]
	v_or_b32_e32 v6, 0xe00, v0
	v_cmp_gt_u32_e64 s[26:27], s34, v6
                                        ; implicit-def: $vgpr19
	s_and_saveexec_b64 s[30:31], s[26:27]
	s_cbranch_execz .LBB13_33
; %bb.32:
	global_load_ubyte v19, v[2:3], off offset:3584
.LBB13_33:
	s_or_b64 exec, exec, s[30:31]
	v_or_b32_e32 v6, 0xf00, v0
	v_cmp_gt_u32_e64 s[30:31], s34, v6
                                        ; implicit-def: $vgpr6
	s_and_saveexec_b64 s[34:35], s[30:31]
	s_cbranch_execz .LBB13_35
; %bb.34:
	global_load_ubyte v6, v[2:3], off offset:3840
.LBB13_35:
	s_or_b64 exec, exec, s[34:35]
	s_add_u32 s34, s28, s33
	s_addc_u32 s35, s29, 0
	v_lshl_add_u64 v[2:3], s[34:35], 0, v[0:1]
	s_and_saveexec_b64 s[34:35], vcc
	s_xor_b64 s[34:35], exec, s[34:35]
	s_cbranch_execnz .LBB13_55
; %bb.36:
	s_or_b64 exec, exec, s[34:35]
	s_and_saveexec_b64 s[34:35], s[0:1]
	s_cbranch_execnz .LBB13_56
.LBB13_37:
	s_or_b64 exec, exec, s[34:35]
	s_and_saveexec_b64 s[0:1], s[2:3]
	s_cbranch_execnz .LBB13_57
.LBB13_38:
	s_or_b64 exec, exec, s[0:1]
	s_and_saveexec_b64 s[0:1], s[4:5]
	s_cbranch_execnz .LBB13_58
.LBB13_39:
	s_or_b64 exec, exec, s[0:1]
	s_and_saveexec_b64 s[0:1], s[6:7]
	s_cbranch_execnz .LBB13_59
.LBB13_40:
	s_or_b64 exec, exec, s[0:1]
	s_and_saveexec_b64 s[0:1], s[8:9]
	s_cbranch_execnz .LBB13_60
.LBB13_41:
	s_or_b64 exec, exec, s[0:1]
	s_and_saveexec_b64 s[0:1], s[10:11]
	s_cbranch_execnz .LBB13_61
.LBB13_42:
	s_or_b64 exec, exec, s[0:1]
	s_and_saveexec_b64 s[0:1], s[12:13]
	s_cbranch_execnz .LBB13_62
.LBB13_43:
	s_or_b64 exec, exec, s[0:1]
	s_and_saveexec_b64 s[0:1], s[14:15]
	s_cbranch_execnz .LBB13_63
.LBB13_44:
	s_or_b64 exec, exec, s[0:1]
	s_and_saveexec_b64 s[0:1], s[16:17]
	s_cbranch_execnz .LBB13_64
.LBB13_45:
	s_or_b64 exec, exec, s[0:1]
	s_and_saveexec_b64 s[0:1], s[18:19]
	s_cbranch_execnz .LBB13_65
.LBB13_46:
	s_or_b64 exec, exec, s[0:1]
	s_and_saveexec_b64 s[0:1], s[20:21]
	s_cbranch_execnz .LBB13_66
.LBB13_47:
	s_or_b64 exec, exec, s[0:1]
	s_and_saveexec_b64 s[0:1], s[22:23]
	s_cbranch_execnz .LBB13_67
.LBB13_48:
	s_or_b64 exec, exec, s[0:1]
	s_and_saveexec_b64 s[0:1], s[24:25]
	s_cbranch_execnz .LBB13_68
.LBB13_49:
	s_or_b64 exec, exec, s[0:1]
	s_and_saveexec_b64 s[0:1], s[26:27]
	s_cbranch_execz .LBB13_51
.LBB13_50:
	s_waitcnt vmcnt(0)
	global_store_byte v[2:3], v19, off offset:3584
.LBB13_51:
	s_or_b64 exec, exec, s[0:1]
.LBB13_52:
	s_and_saveexec_b64 s[0:1], s[30:31]
	s_cbranch_execnz .LBB13_54
; %bb.53:
	s_endpgm
.LBB13_54:
	s_add_u32 s0, s28, s33
	s_addc_u32 s1, s29, 0
	v_lshl_add_u64 v[0:1], s[0:1], 0, v[0:1]
	s_waitcnt vmcnt(0)
	global_store_byte v[0:1], v6, off offset:3840
	s_endpgm
.LBB13_55:
	s_waitcnt vmcnt(0)
	global_store_byte v[2:3], v4, off
	s_or_b64 exec, exec, s[34:35]
	s_and_saveexec_b64 s[34:35], s[0:1]
	s_cbranch_execz .LBB13_37
.LBB13_56:
	s_waitcnt vmcnt(0)
	global_store_byte v[2:3], v5, off offset:256
	s_or_b64 exec, exec, s[34:35]
	s_and_saveexec_b64 s[0:1], s[2:3]
	s_cbranch_execz .LBB13_38
.LBB13_57:
	s_waitcnt vmcnt(0)
	global_store_byte v[2:3], v7, off offset:512
	s_or_b64 exec, exec, s[0:1]
	s_and_saveexec_b64 s[0:1], s[4:5]
	s_cbranch_execz .LBB13_39
.LBB13_58:
	s_waitcnt vmcnt(0)
	global_store_byte v[2:3], v8, off offset:768
	s_or_b64 exec, exec, s[0:1]
	s_and_saveexec_b64 s[0:1], s[6:7]
	s_cbranch_execz .LBB13_40
.LBB13_59:
	s_waitcnt vmcnt(0)
	global_store_byte v[2:3], v9, off offset:1024
	s_or_b64 exec, exec, s[0:1]
	s_and_saveexec_b64 s[0:1], s[8:9]
	s_cbranch_execz .LBB13_41
.LBB13_60:
	s_waitcnt vmcnt(0)
	global_store_byte v[2:3], v10, off offset:1280
	s_or_b64 exec, exec, s[0:1]
	s_and_saveexec_b64 s[0:1], s[10:11]
	s_cbranch_execz .LBB13_42
.LBB13_61:
	s_waitcnt vmcnt(0)
	global_store_byte v[2:3], v11, off offset:1536
	s_or_b64 exec, exec, s[0:1]
	s_and_saveexec_b64 s[0:1], s[12:13]
	s_cbranch_execz .LBB13_43
.LBB13_62:
	s_waitcnt vmcnt(0)
	global_store_byte v[2:3], v12, off offset:1792
	s_or_b64 exec, exec, s[0:1]
	s_and_saveexec_b64 s[0:1], s[14:15]
	s_cbranch_execz .LBB13_44
.LBB13_63:
	s_waitcnt vmcnt(0)
	global_store_byte v[2:3], v13, off offset:2048
	s_or_b64 exec, exec, s[0:1]
	s_and_saveexec_b64 s[0:1], s[16:17]
	s_cbranch_execz .LBB13_45
.LBB13_64:
	s_waitcnt vmcnt(0)
	global_store_byte v[2:3], v14, off offset:2304
	s_or_b64 exec, exec, s[0:1]
	s_and_saveexec_b64 s[0:1], s[18:19]
	s_cbranch_execz .LBB13_46
.LBB13_65:
	s_waitcnt vmcnt(0)
	global_store_byte v[2:3], v15, off offset:2560
	s_or_b64 exec, exec, s[0:1]
	s_and_saveexec_b64 s[0:1], s[20:21]
	s_cbranch_execz .LBB13_47
.LBB13_66:
	s_waitcnt vmcnt(0)
	global_store_byte v[2:3], v16, off offset:2816
	s_or_b64 exec, exec, s[0:1]
	s_and_saveexec_b64 s[0:1], s[22:23]
	s_cbranch_execz .LBB13_48
.LBB13_67:
	s_waitcnt vmcnt(0)
	global_store_byte v[2:3], v17, off offset:3072
	s_or_b64 exec, exec, s[0:1]
	s_and_saveexec_b64 s[0:1], s[24:25]
	s_cbranch_execz .LBB13_49
.LBB13_68:
	s_waitcnt vmcnt(0)
	global_store_byte v[2:3], v18, off offset:3328
	s_or_b64 exec, exec, s[0:1]
	s_and_saveexec_b64 s[0:1], s[26:27]
	s_cbranch_execnz .LBB13_50
	s_branch .LBB13_51
	.section	.rodata,"a",@progbits
	.p2align	6, 0x0
	.amdhsa_kernel _ZN7rocprim17ROCPRIM_304000_NS6detail16transform_kernelINS1_24wrapped_transform_configINS0_14default_configEN2at4cuda3cub6detail10OpaqueTypeILi1EEEEESA_PKSA_PSA_NS0_8identityISA_EEEEvT1_mT2_T3_
		.amdhsa_group_segment_fixed_size 0
		.amdhsa_private_segment_fixed_size 0
		.amdhsa_kernarg_size 288
		.amdhsa_user_sgpr_count 2
		.amdhsa_user_sgpr_dispatch_ptr 0
		.amdhsa_user_sgpr_queue_ptr 0
		.amdhsa_user_sgpr_kernarg_segment_ptr 1
		.amdhsa_user_sgpr_dispatch_id 0
		.amdhsa_user_sgpr_kernarg_preload_length 0
		.amdhsa_user_sgpr_kernarg_preload_offset 0
		.amdhsa_user_sgpr_private_segment_size 0
		.amdhsa_uses_dynamic_stack 0
		.amdhsa_enable_private_segment 0
		.amdhsa_system_sgpr_workgroup_id_x 1
		.amdhsa_system_sgpr_workgroup_id_y 0
		.amdhsa_system_sgpr_workgroup_id_z 0
		.amdhsa_system_sgpr_workgroup_info 0
		.amdhsa_system_vgpr_workitem_id 0
		.amdhsa_next_free_vgpr 22
		.amdhsa_next_free_sgpr 36
		.amdhsa_accum_offset 24
		.amdhsa_reserve_vcc 1
		.amdhsa_float_round_mode_32 0
		.amdhsa_float_round_mode_16_64 0
		.amdhsa_float_denorm_mode_32 3
		.amdhsa_float_denorm_mode_16_64 3
		.amdhsa_dx10_clamp 1
		.amdhsa_ieee_mode 1
		.amdhsa_fp16_overflow 0
		.amdhsa_tg_split 0
		.amdhsa_exception_fp_ieee_invalid_op 0
		.amdhsa_exception_fp_denorm_src 0
		.amdhsa_exception_fp_ieee_div_zero 0
		.amdhsa_exception_fp_ieee_overflow 0
		.amdhsa_exception_fp_ieee_underflow 0
		.amdhsa_exception_fp_ieee_inexact 0
		.amdhsa_exception_int_div_zero 0
	.end_amdhsa_kernel
	.section	.text._ZN7rocprim17ROCPRIM_304000_NS6detail16transform_kernelINS1_24wrapped_transform_configINS0_14default_configEN2at4cuda3cub6detail10OpaqueTypeILi1EEEEESA_PKSA_PSA_NS0_8identityISA_EEEEvT1_mT2_T3_,"axG",@progbits,_ZN7rocprim17ROCPRIM_304000_NS6detail16transform_kernelINS1_24wrapped_transform_configINS0_14default_configEN2at4cuda3cub6detail10OpaqueTypeILi1EEEEESA_PKSA_PSA_NS0_8identityISA_EEEEvT1_mT2_T3_,comdat
.Lfunc_end13:
	.size	_ZN7rocprim17ROCPRIM_304000_NS6detail16transform_kernelINS1_24wrapped_transform_configINS0_14default_configEN2at4cuda3cub6detail10OpaqueTypeILi1EEEEESA_PKSA_PSA_NS0_8identityISA_EEEEvT1_mT2_T3_, .Lfunc_end13-_ZN7rocprim17ROCPRIM_304000_NS6detail16transform_kernelINS1_24wrapped_transform_configINS0_14default_configEN2at4cuda3cub6detail10OpaqueTypeILi1EEEEESA_PKSA_PSA_NS0_8identityISA_EEEEvT1_mT2_T3_
                                        ; -- End function
	.section	.AMDGPU.csdata,"",@progbits
; Kernel info:
; codeLenInByte = 1572
; NumSgprs: 42
; NumVgprs: 22
; NumAgprs: 0
; TotalNumVgprs: 22
; ScratchSize: 0
; MemoryBound: 0
; FloatMode: 240
; IeeeMode: 1
; LDSByteSize: 0 bytes/workgroup (compile time only)
; SGPRBlocks: 5
; VGPRBlocks: 2
; NumSGPRsForWavesPerEU: 42
; NumVGPRsForWavesPerEU: 22
; AccumOffset: 24
; Occupancy: 8
; WaveLimiterHint : 1
; COMPUTE_PGM_RSRC2:SCRATCH_EN: 0
; COMPUTE_PGM_RSRC2:USER_SGPR: 2
; COMPUTE_PGM_RSRC2:TRAP_HANDLER: 0
; COMPUTE_PGM_RSRC2:TGID_X_EN: 1
; COMPUTE_PGM_RSRC2:TGID_Y_EN: 0
; COMPUTE_PGM_RSRC2:TGID_Z_EN: 0
; COMPUTE_PGM_RSRC2:TIDIG_COMP_CNT: 0
; COMPUTE_PGM_RSRC3_GFX90A:ACCUM_OFFSET: 5
; COMPUTE_PGM_RSRC3_GFX90A:TG_SPLIT: 0
	.section	.text._ZN7rocprim17ROCPRIM_304000_NS6detail25onesweep_iteration_kernelINS1_34wrapped_radix_sort_onesweep_configINS0_14default_configElN2at4cuda3cub6detail10OpaqueTypeILi1EEEEELb1EPKlPlPKSA_PSA_mNS0_19identity_decomposerEEEvT1_T2_T3_T4_jPT5_SO_PNS1_23onesweep_lookback_stateET6_jjj,"axG",@progbits,_ZN7rocprim17ROCPRIM_304000_NS6detail25onesweep_iteration_kernelINS1_34wrapped_radix_sort_onesweep_configINS0_14default_configElN2at4cuda3cub6detail10OpaqueTypeILi1EEEEELb1EPKlPlPKSA_PSA_mNS0_19identity_decomposerEEEvT1_T2_T3_T4_jPT5_SO_PNS1_23onesweep_lookback_stateET6_jjj,comdat
	.protected	_ZN7rocprim17ROCPRIM_304000_NS6detail25onesweep_iteration_kernelINS1_34wrapped_radix_sort_onesweep_configINS0_14default_configElN2at4cuda3cub6detail10OpaqueTypeILi1EEEEELb1EPKlPlPKSA_PSA_mNS0_19identity_decomposerEEEvT1_T2_T3_T4_jPT5_SO_PNS1_23onesweep_lookback_stateET6_jjj ; -- Begin function _ZN7rocprim17ROCPRIM_304000_NS6detail25onesweep_iteration_kernelINS1_34wrapped_radix_sort_onesweep_configINS0_14default_configElN2at4cuda3cub6detail10OpaqueTypeILi1EEEEELb1EPKlPlPKSA_PSA_mNS0_19identity_decomposerEEEvT1_T2_T3_T4_jPT5_SO_PNS1_23onesweep_lookback_stateET6_jjj
	.globl	_ZN7rocprim17ROCPRIM_304000_NS6detail25onesweep_iteration_kernelINS1_34wrapped_radix_sort_onesweep_configINS0_14default_configElN2at4cuda3cub6detail10OpaqueTypeILi1EEEEELb1EPKlPlPKSA_PSA_mNS0_19identity_decomposerEEEvT1_T2_T3_T4_jPT5_SO_PNS1_23onesweep_lookback_stateET6_jjj
	.p2align	8
	.type	_ZN7rocprim17ROCPRIM_304000_NS6detail25onesweep_iteration_kernelINS1_34wrapped_radix_sort_onesweep_configINS0_14default_configElN2at4cuda3cub6detail10OpaqueTypeILi1EEEEELb1EPKlPlPKSA_PSA_mNS0_19identity_decomposerEEEvT1_T2_T3_T4_jPT5_SO_PNS1_23onesweep_lookback_stateET6_jjj,@function
_ZN7rocprim17ROCPRIM_304000_NS6detail25onesweep_iteration_kernelINS1_34wrapped_radix_sort_onesweep_configINS0_14default_configElN2at4cuda3cub6detail10OpaqueTypeILi1EEEEELb1EPKlPlPKSA_PSA_mNS0_19identity_decomposerEEEvT1_T2_T3_T4_jPT5_SO_PNS1_23onesweep_lookback_stateET6_jjj: ; @_ZN7rocprim17ROCPRIM_304000_NS6detail25onesweep_iteration_kernelINS1_34wrapped_radix_sort_onesweep_configINS0_14default_configElN2at4cuda3cub6detail10OpaqueTypeILi1EEEEELb1EPKlPlPKSA_PSA_mNS0_19identity_decomposerEEEvT1_T2_T3_T4_jPT5_SO_PNS1_23onesweep_lookback_stateET6_jjj
; %bb.0:
	s_load_dwordx4 s[44:47], s[0:1], 0x44
	s_load_dwordx8 s[36:43], s[0:1], 0x0
	s_load_dwordx4 s[28:31], s[0:1], 0x28
	s_load_dwordx2 s[48:49], s[0:1], 0x38
	s_mul_i32 s34, s2, 0x1800
	s_waitcnt lgkmcnt(0)
	s_cmp_ge_u32 s2, s46
	v_mbcnt_lo_u32_b32 v1, -1, 0
	s_cbranch_scc0 .LBB14_86
; %bb.1:
	s_load_dword s3, s[0:1], 0x20
	s_mul_i32 s33, s46, 0xffffe800
	s_mov_b32 s35, 0
	v_and_b32_e32 v2, 0x3ff, v0
	s_lshl_b64 s[4:5], s[34:35], 3
	s_waitcnt lgkmcnt(0)
	s_add_i32 s33, s33, s3
	s_add_u32 s4, s36, s4
	v_mov_b32_e32 v5, 0
	v_mbcnt_hi_u32_b32 v4, -1, v1
	v_and_b32_e32 v3, 0x3c0, v2
	s_addc_u32 s5, s37, s5
	v_mul_u32_u24_e32 v6, 6, v3
	v_lshlrev_b32_e32 v8, 3, v4
	v_mov_b32_e32 v9, v5
	v_lshl_add_u64 v[8:9], s[4:5], 0, v[8:9]
	v_lshlrev_b32_e32 v10, 3, v6
	v_mov_b32_e32 v11, v5
	v_or_b32_e32 v3, v4, v6
	s_brev_b32 s5, 1
	s_mov_b32 s4, s35
	v_lshl_add_u64 v[20:21], v[8:9], 0, v[10:11]
	v_cmp_gt_u32_e32 vcc, s33, v3
	v_mov_b64_e32 v[8:9], s[4:5]
	s_and_saveexec_b64 s[6:7], vcc
	s_cbranch_execz .LBB14_3
; %bb.2:
	global_load_dwordx2 v[8:9], v[20:21], off
.LBB14_3:
	s_or_b64 exec, exec, s[6:7]
	v_add_u32_e32 v7, 64, v3
	v_cmp_gt_u32_e64 s[26:27], s33, v7
	v_mov_b64_e32 v[10:11], s[4:5]
	s_and_saveexec_b64 s[4:5], s[26:27]
	s_cbranch_execz .LBB14_5
; %bb.4:
	global_load_dwordx2 v[10:11], v[20:21], off offset:512
.LBB14_5:
	s_or_b64 exec, exec, s[4:5]
	s_mov_b32 s8, 0
	v_add_u32_e32 v7, 0x80, v3
	s_brev_b32 s9, 1
	v_cmp_gt_u32_e64 s[4:5], s33, v7
	v_mov_b64_e32 v[16:17], s[8:9]
	s_and_saveexec_b64 s[6:7], s[4:5]
	s_cbranch_execz .LBB14_7
; %bb.6:
	global_load_dwordx2 v[16:17], v[20:21], off offset:1024
.LBB14_7:
	s_or_b64 exec, exec, s[6:7]
	v_add_u32_e32 v7, 0xc0, v3
	v_cmp_gt_u32_e64 s[6:7], s33, v7
	v_mov_b64_e32 v[18:19], s[8:9]
	s_and_saveexec_b64 s[8:9], s[6:7]
	s_cbranch_execz .LBB14_9
; %bb.8:
	global_load_dwordx2 v[18:19], v[20:21], off offset:1536
.LBB14_9:
	s_or_b64 exec, exec, s[8:9]
	s_mov_b32 s12, 0
	v_add_u32_e32 v7, 0x100, v3
	s_brev_b32 s13, 1
	v_cmp_gt_u32_e64 s[8:9], s33, v7
	v_mov_b64_e32 v[14:15], s[12:13]
	s_and_saveexec_b64 s[10:11], s[8:9]
	s_cbranch_execz .LBB14_11
; %bb.10:
	global_load_dwordx2 v[14:15], v[20:21], off offset:2048
.LBB14_11:
	s_or_b64 exec, exec, s[10:11]
	v_add_u32_e32 v3, 0x140, v3
	v_cmp_gt_u32_e64 s[10:11], s33, v3
	v_mov_b64_e32 v[12:13], s[12:13]
	s_and_saveexec_b64 s[12:13], s[10:11]
	s_cbranch_execz .LBB14_13
; %bb.12:
	global_load_dwordx2 v[12:13], v[20:21], off offset:2560
.LBB14_13:
	s_or_b64 exec, exec, s[12:13]
	s_load_dword s12, s[0:1], 0x5c
	s_load_dword s3, s[0:1], 0x50
	s_add_u32 s13, s0, 0x50
	s_addc_u32 s14, s1, 0
	v_mov_b32_e32 v21, 0
	s_waitcnt lgkmcnt(0)
	s_lshr_b32 s15, s12, 16
	s_cmp_lt_u32 s2, s3
	s_cselect_b32 s12, 12, 18
	s_add_u32 s12, s13, s12
	s_addc_u32 s13, s14, 0
	global_load_ushort v7, v21, s[12:13]
	s_waitcnt vmcnt(1)
	v_xor_b32_e32 v9, 0x7fffffff, v9
	v_not_b32_e32 v8, v8
	s_lshl_b32 s12, -1, s45
	v_lshrrev_b64 v[22:23], s44, v[8:9]
	s_not_b32 s35, s12
	v_bfe_u32 v20, v0, 10, 10
	v_bfe_u32 v25, v0, 20, 10
	v_and_b32_e32 v37, s35, v22
	v_mad_u32_u24 v36, v25, s15, v20
	v_and_b32_e32 v20, 1, v37
	v_lshlrev_b32_e32 v25, 30, v37
	v_mov_b32_e32 v24, v21
	v_lshlrev_b32_e32 v27, 29, v37
	v_lshl_add_u64 v[22:23], v[20:21], 0, -1
	v_cmp_ne_u32_e64 s[12:13], 0, v20
	v_not_b32_e32 v20, v25
	v_mov_b32_e32 v26, v21
	v_mov_b32_e32 v28, v21
	v_lshlrev_b32_e32 v29, 28, v37
	v_cmp_gt_i64_e64 s[14:15], 0, v[24:25]
	v_not_b32_e32 v24, v27
	v_xor_b32_e32 v23, s13, v23
	v_ashrrev_i32_e32 v20, 31, v20
	v_mov_b32_e32 v30, v21
	v_lshlrev_b32_e32 v31, 27, v37
	v_cmp_gt_i64_e64 s[16:17], 0, v[26:27]
	v_cmp_gt_i64_e64 s[18:19], 0, v[28:29]
	v_not_b32_e32 v25, v29
	v_xor_b32_e32 v22, s12, v22
	v_ashrrev_i32_e32 v24, 31, v24
	v_and_b32_e32 v23, exec_hi, v23
	v_xor_b32_e32 v29, s15, v20
	v_lshlrev_b32_e32 v33, 26, v37
	v_cmp_gt_i64_e64 s[20:21], 0, v[30:31]
	v_not_b32_e32 v26, v31
	v_ashrrev_i32_e32 v25, 31, v25
	v_and_b32_e32 v22, exec_lo, v22
	v_xor_b32_e32 v20, s14, v20
	v_xor_b32_e32 v30, s17, v24
	v_and_b32_e32 v23, v23, v29
	v_mov_b32_e32 v32, v21
	v_lshlrev_b32_e32 v35, 25, v37
	v_not_b32_e32 v27, v33
	v_ashrrev_i32_e32 v26, 31, v26
	v_xor_b32_e32 v31, s19, v25
	v_and_b32_e32 v20, v22, v20
	v_and_b32_e32 v22, v23, v30
	v_mov_b32_e32 v34, v21
	v_cmp_gt_i64_e64 s[22:23], 0, v[32:33]
	v_not_b32_e32 v28, v35
	v_ashrrev_i32_e32 v27, 31, v27
	v_xor_b32_e32 v32, s21, v26
	v_and_b32_e32 v22, v22, v31
	v_mul_u32_u24_e32 v3, 5, v2
	v_cmp_gt_i64_e64 s[24:25], 0, v[34:35]
	v_ashrrev_i32_e32 v28, 31, v28
	v_xor_b32_e32 v33, s23, v27
	v_and_b32_e32 v22, v22, v32
	v_lshlrev_b32_e32 v3, 2, v3
	v_xor_b32_e32 v24, s16, v24
	v_xor_b32_e32 v34, s25, v28
	v_and_b32_e32 v22, v22, v33
	v_xor_b32_e32 v25, s18, v25
	v_and_b32_e32 v20, v20, v24
	v_and_b32_e32 v24, v22, v34
	v_xor_b32_e32 v26, s20, v26
	v_and_b32_e32 v20, v20, v25
	v_xor_b32_e32 v27, s22, v27
	;; [unrolled: 2-line block ×3, first 2 shown]
	v_and_b32_e32 v20, v20, v27
	v_and_b32_e32 v20, v20, v28
	v_lshl_add_u32 v38, v37, 4, v37
	ds_write2_b32 v3, v21, v21 offset0:16 offset1:17
	ds_write2_b32 v3, v21, v21 offset0:18 offset1:19
	ds_write_b32 v3, v21 offset:80
	s_waitcnt lgkmcnt(0)
	s_barrier
	s_waitcnt lgkmcnt(0)
	; wave barrier
	s_waitcnt vmcnt(0)
	v_mad_u64_u32 v[22:23], s[12:13], v36, v7, v[2:3]
	v_lshrrev_b32_e32 v31, 6, v22
	v_lshlrev_b32_e32 v23, 24, v37
	v_mov_b32_e32 v22, v21
	v_cmp_gt_i64_e64 s[12:13], 0, v[22:23]
	v_not_b32_e32 v22, v23
	v_ashrrev_i32_e32 v22, 31, v22
	v_xor_b32_e32 v23, s13, v22
	v_xor_b32_e32 v22, s12, v22
	v_and_b32_e32 v22, v20, v22
	v_and_b32_e32 v23, v24, v23
	v_mbcnt_lo_u32_b32 v20, v22, 0
	v_mbcnt_hi_u32_b32 v24, v23, v20
	v_cmp_eq_u32_e64 s[12:13], 0, v24
	v_cmp_ne_u64_e64 s[14:15], 0, v[22:23]
	v_add_lshl_u32 v7, v31, v38, 2
	s_and_b64 s[14:15], s[14:15], s[12:13]
	s_and_saveexec_b64 s[12:13], s[14:15]
	s_cbranch_execz .LBB14_15
; %bb.14:
	v_bcnt_u32_b32 v20, v22, 0
	v_bcnt_u32_b32 v20, v23, v20
	ds_write_b32 v7, v20 offset:64
.LBB14_15:
	s_or_b64 exec, exec, s[12:13]
	v_xor_b32_e32 v11, 0x7fffffff, v11
	v_not_b32_e32 v10, v10
	v_lshrrev_b64 v[22:23], s44, v[10:11]
	v_and_b32_e32 v27, s35, v22
	v_lshl_add_u32 v20, v27, 4, v27
	v_add_lshl_u32 v26, v31, v20, 2
	v_and_b32_e32 v20, 1, v27
	v_lshl_add_u64 v[22:23], v[20:21], 0, -1
	v_cmp_ne_u32_e64 s[12:13], 0, v20
	; wave barrier
	s_nop 1
	v_xor_b32_e32 v22, s12, v22
	v_xor_b32_e32 v20, s13, v23
	v_and_b32_e32 v28, exec_lo, v22
	v_lshlrev_b32_e32 v23, 30, v27
	v_mov_b32_e32 v22, v21
	v_cmp_gt_i64_e64 s[12:13], 0, v[22:23]
	v_not_b32_e32 v22, v23
	v_ashrrev_i32_e32 v22, 31, v22
	v_and_b32_e32 v20, exec_hi, v20
	v_xor_b32_e32 v23, s13, v22
	v_xor_b32_e32 v22, s12, v22
	v_and_b32_e32 v20, v20, v23
	v_and_b32_e32 v28, v28, v22
	v_lshlrev_b32_e32 v23, 29, v27
	v_mov_b32_e32 v22, v21
	v_cmp_gt_i64_e64 s[12:13], 0, v[22:23]
	v_not_b32_e32 v22, v23
	v_ashrrev_i32_e32 v22, 31, v22
	v_xor_b32_e32 v23, s13, v22
	v_xor_b32_e32 v22, s12, v22
	v_and_b32_e32 v20, v20, v23
	v_and_b32_e32 v28, v28, v22
	v_lshlrev_b32_e32 v23, 28, v27
	v_mov_b32_e32 v22, v21
	v_cmp_gt_i64_e64 s[12:13], 0, v[22:23]
	v_not_b32_e32 v22, v23
	v_ashrrev_i32_e32 v22, 31, v22
	;; [unrolled: 9-line block ×5, first 2 shown]
	v_xor_b32_e32 v23, s13, v22
	v_xor_b32_e32 v22, s12, v22
	v_and_b32_e32 v20, v20, v23
	v_lshlrev_b32_e32 v23, 24, v27
	v_and_b32_e32 v28, v28, v22
	v_mov_b32_e32 v22, v21
	v_not_b32_e32 v21, v23
	v_cmp_gt_i64_e64 s[12:13], 0, v[22:23]
	v_ashrrev_i32_e32 v21, 31, v21
	ds_read_b32 v25, v26 offset:64
	v_xor_b32_e32 v22, s13, v21
	v_xor_b32_e32 v23, s12, v21
	v_and_b32_e32 v21, v20, v22
	v_and_b32_e32 v20, v28, v23
	v_mbcnt_lo_u32_b32 v22, v20, 0
	v_mbcnt_hi_u32_b32 v27, v21, v22
	v_cmp_eq_u32_e64 s[12:13], 0, v27
	v_cmp_ne_u64_e64 s[14:15], 0, v[20:21]
	s_and_b64 s[14:15], s[14:15], s[12:13]
	; wave barrier
	s_and_saveexec_b64 s[12:13], s[14:15]
	s_cbranch_execz .LBB14_17
; %bb.16:
	v_bcnt_u32_b32 v20, v20, 0
	v_bcnt_u32_b32 v20, v21, v20
	s_waitcnt lgkmcnt(0)
	v_add_u32_e32 v20, v25, v20
	ds_write_b32 v26, v20 offset:64
.LBB14_17:
	s_or_b64 exec, exec, s[12:13]
	v_xor_b32_e32 v17, 0x7fffffff, v17
	v_not_b32_e32 v16, v16
	v_lshrrev_b64 v[20:21], s44, v[16:17]
	v_and_b32_e32 v30, s35, v20
	v_lshl_add_u32 v20, v30, 4, v30
	v_add_lshl_u32 v29, v31, v20, 2
	v_and_b32_e32 v20, 1, v30
	v_mov_b32_e32 v21, 0
	v_lshl_add_u64 v[22:23], v[20:21], 0, -1
	v_cmp_ne_u32_e64 s[12:13], 0, v20
	; wave barrier
	s_nop 1
	v_xor_b32_e32 v22, s12, v22
	v_xor_b32_e32 v20, s13, v23
	v_and_b32_e32 v32, exec_lo, v22
	v_lshlrev_b32_e32 v23, 30, v30
	v_mov_b32_e32 v22, v21
	v_cmp_gt_i64_e64 s[12:13], 0, v[22:23]
	v_not_b32_e32 v22, v23
	v_ashrrev_i32_e32 v22, 31, v22
	v_and_b32_e32 v20, exec_hi, v20
	v_xor_b32_e32 v23, s13, v22
	v_xor_b32_e32 v22, s12, v22
	v_and_b32_e32 v20, v20, v23
	v_and_b32_e32 v32, v32, v22
	v_lshlrev_b32_e32 v23, 29, v30
	v_mov_b32_e32 v22, v21
	v_cmp_gt_i64_e64 s[12:13], 0, v[22:23]
	v_not_b32_e32 v22, v23
	v_ashrrev_i32_e32 v22, 31, v22
	v_xor_b32_e32 v23, s13, v22
	v_xor_b32_e32 v22, s12, v22
	v_and_b32_e32 v20, v20, v23
	v_and_b32_e32 v32, v32, v22
	v_lshlrev_b32_e32 v23, 28, v30
	v_mov_b32_e32 v22, v21
	v_cmp_gt_i64_e64 s[12:13], 0, v[22:23]
	v_not_b32_e32 v22, v23
	v_ashrrev_i32_e32 v22, 31, v22
	;; [unrolled: 9-line block ×6, first 2 shown]
	v_xor_b32_e32 v23, s13, v22
	v_xor_b32_e32 v22, s12, v22
	ds_read_b32 v28, v29 offset:64
	v_and_b32_e32 v22, v32, v22
	v_and_b32_e32 v23, v20, v23
	v_mbcnt_lo_u32_b32 v20, v22, 0
	v_mbcnt_hi_u32_b32 v30, v23, v20
	v_cmp_eq_u32_e64 s[12:13], 0, v30
	v_cmp_ne_u64_e64 s[14:15], 0, v[22:23]
	s_and_b64 s[14:15], s[14:15], s[12:13]
	; wave barrier
	s_and_saveexec_b64 s[12:13], s[14:15]
	s_cbranch_execz .LBB14_19
; %bb.18:
	v_bcnt_u32_b32 v20, v22, 0
	v_bcnt_u32_b32 v20, v23, v20
	s_waitcnt lgkmcnt(0)
	v_add_u32_e32 v20, v28, v20
	ds_write_b32 v29, v20 offset:64
.LBB14_19:
	s_or_b64 exec, exec, s[12:13]
	v_xor_b32_e32 v19, 0x7fffffff, v19
	v_not_b32_e32 v18, v18
	v_lshrrev_b64 v[22:23], s44, v[18:19]
	v_and_b32_e32 v34, s35, v22
	v_lshl_add_u32 v20, v34, 4, v34
	v_add_lshl_u32 v33, v31, v20, 2
	v_and_b32_e32 v20, 1, v34
	v_lshl_add_u64 v[22:23], v[20:21], 0, -1
	v_cmp_ne_u32_e64 s[12:13], 0, v20
	; wave barrier
	s_nop 1
	v_xor_b32_e32 v22, s12, v22
	v_xor_b32_e32 v20, s13, v23
	v_and_b32_e32 v35, exec_lo, v22
	v_lshlrev_b32_e32 v23, 30, v34
	v_mov_b32_e32 v22, v21
	v_cmp_gt_i64_e64 s[12:13], 0, v[22:23]
	v_not_b32_e32 v22, v23
	v_ashrrev_i32_e32 v22, 31, v22
	v_and_b32_e32 v20, exec_hi, v20
	v_xor_b32_e32 v23, s13, v22
	v_xor_b32_e32 v22, s12, v22
	v_and_b32_e32 v20, v20, v23
	v_and_b32_e32 v35, v35, v22
	v_lshlrev_b32_e32 v23, 29, v34
	v_mov_b32_e32 v22, v21
	v_cmp_gt_i64_e64 s[12:13], 0, v[22:23]
	v_not_b32_e32 v22, v23
	v_ashrrev_i32_e32 v22, 31, v22
	v_xor_b32_e32 v23, s13, v22
	v_xor_b32_e32 v22, s12, v22
	v_and_b32_e32 v20, v20, v23
	v_and_b32_e32 v35, v35, v22
	v_lshlrev_b32_e32 v23, 28, v34
	v_mov_b32_e32 v22, v21
	v_cmp_gt_i64_e64 s[12:13], 0, v[22:23]
	v_not_b32_e32 v22, v23
	v_ashrrev_i32_e32 v22, 31, v22
	;; [unrolled: 9-line block ×5, first 2 shown]
	v_xor_b32_e32 v23, s13, v22
	v_xor_b32_e32 v22, s12, v22
	v_and_b32_e32 v20, v20, v23
	v_lshlrev_b32_e32 v23, 24, v34
	v_and_b32_e32 v35, v35, v22
	v_mov_b32_e32 v22, v21
	v_not_b32_e32 v21, v23
	v_cmp_gt_i64_e64 s[12:13], 0, v[22:23]
	v_ashrrev_i32_e32 v21, 31, v21
	ds_read_b32 v32, v33 offset:64
	v_xor_b32_e32 v22, s13, v21
	v_xor_b32_e32 v23, s12, v21
	v_and_b32_e32 v21, v20, v22
	v_and_b32_e32 v20, v35, v23
	v_mbcnt_lo_u32_b32 v22, v20, 0
	v_mbcnt_hi_u32_b32 v34, v21, v22
	v_cmp_eq_u32_e64 s[12:13], 0, v34
	v_cmp_ne_u64_e64 s[14:15], 0, v[20:21]
	s_and_b64 s[14:15], s[14:15], s[12:13]
	; wave barrier
	s_and_saveexec_b64 s[12:13], s[14:15]
	s_cbranch_execz .LBB14_21
; %bb.20:
	v_bcnt_u32_b32 v20, v20, 0
	v_bcnt_u32_b32 v20, v21, v20
	s_waitcnt lgkmcnt(0)
	v_add_u32_e32 v20, v32, v20
	ds_write_b32 v33, v20 offset:64
.LBB14_21:
	s_or_b64 exec, exec, s[12:13]
	v_xor_b32_e32 v21, 0x7fffffff, v15
	v_not_b32_e32 v20, v14
	v_lshrrev_b64 v[14:15], s44, v[20:21]
	v_and_b32_e32 v37, s35, v14
	v_lshl_add_u32 v14, v37, 4, v37
	v_add_lshl_u32 v36, v31, v14, 2
	v_and_b32_e32 v14, 1, v37
	v_mov_b32_e32 v15, 0
	v_lshl_add_u64 v[22:23], v[14:15], 0, -1
	v_cmp_ne_u32_e64 s[12:13], 0, v14
	; wave barrier
	s_nop 1
	v_xor_b32_e32 v22, s12, v22
	v_xor_b32_e32 v14, s13, v23
	v_and_b32_e32 v38, exec_lo, v22
	v_lshlrev_b32_e32 v23, 30, v37
	v_mov_b32_e32 v22, v15
	v_cmp_gt_i64_e64 s[12:13], 0, v[22:23]
	v_not_b32_e32 v22, v23
	v_ashrrev_i32_e32 v22, 31, v22
	v_and_b32_e32 v14, exec_hi, v14
	v_xor_b32_e32 v23, s13, v22
	v_xor_b32_e32 v22, s12, v22
	v_and_b32_e32 v14, v14, v23
	v_and_b32_e32 v38, v38, v22
	v_lshlrev_b32_e32 v23, 29, v37
	v_mov_b32_e32 v22, v15
	v_cmp_gt_i64_e64 s[12:13], 0, v[22:23]
	v_not_b32_e32 v22, v23
	v_ashrrev_i32_e32 v22, 31, v22
	v_xor_b32_e32 v23, s13, v22
	v_xor_b32_e32 v22, s12, v22
	v_and_b32_e32 v14, v14, v23
	v_and_b32_e32 v38, v38, v22
	v_lshlrev_b32_e32 v23, 28, v37
	v_mov_b32_e32 v22, v15
	v_cmp_gt_i64_e64 s[12:13], 0, v[22:23]
	v_not_b32_e32 v22, v23
	v_ashrrev_i32_e32 v22, 31, v22
	;; [unrolled: 9-line block ×6, first 2 shown]
	v_xor_b32_e32 v23, s13, v22
	v_xor_b32_e32 v22, s12, v22
	ds_read_b32 v35, v36 offset:64
	v_and_b32_e32 v22, v38, v22
	v_and_b32_e32 v23, v14, v23
	v_mbcnt_lo_u32_b32 v14, v22, 0
	v_mbcnt_hi_u32_b32 v37, v23, v14
	v_cmp_eq_u32_e64 s[12:13], 0, v37
	v_cmp_ne_u64_e64 s[14:15], 0, v[22:23]
	s_and_b64 s[14:15], s[14:15], s[12:13]
	; wave barrier
	s_and_saveexec_b64 s[12:13], s[14:15]
	s_cbranch_execz .LBB14_23
; %bb.22:
	v_bcnt_u32_b32 v14, v22, 0
	v_bcnt_u32_b32 v14, v23, v14
	s_waitcnt lgkmcnt(0)
	v_add_u32_e32 v14, v35, v14
	ds_write_b32 v36, v14 offset:64
.LBB14_23:
	s_or_b64 exec, exec, s[12:13]
	v_xor_b32_e32 v23, 0x7fffffff, v13
	v_not_b32_e32 v22, v12
	v_lshrrev_b64 v[12:13], s44, v[22:23]
	v_and_b32_e32 v40, s35, v12
	v_lshl_add_u32 v12, v40, 4, v40
	v_and_b32_e32 v14, 1, v40
	v_add_lshl_u32 v39, v31, v12, 2
	v_lshl_add_u64 v[12:13], v[14:15], 0, -1
	v_cmp_ne_u32_e64 s[12:13], 0, v14
	; wave barrier
	s_nop 1
	v_xor_b32_e32 v13, s13, v13
	v_xor_b32_e32 v12, s12, v12
	v_and_b32_e32 v14, exec_hi, v13
	v_and_b32_e32 v41, exec_lo, v12
	v_lshlrev_b32_e32 v13, 30, v40
	v_mov_b32_e32 v12, v15
	v_cmp_gt_i64_e64 s[12:13], 0, v[12:13]
	v_not_b32_e32 v12, v13
	v_ashrrev_i32_e32 v12, 31, v12
	v_xor_b32_e32 v13, s13, v12
	v_xor_b32_e32 v12, s12, v12
	v_and_b32_e32 v14, v14, v13
	v_and_b32_e32 v41, v41, v12
	v_lshlrev_b32_e32 v13, 29, v40
	v_mov_b32_e32 v12, v15
	v_cmp_gt_i64_e64 s[12:13], 0, v[12:13]
	v_not_b32_e32 v12, v13
	v_ashrrev_i32_e32 v12, 31, v12
	v_xor_b32_e32 v13, s13, v12
	v_xor_b32_e32 v12, s12, v12
	v_and_b32_e32 v14, v14, v13
	v_and_b32_e32 v41, v41, v12
	;; [unrolled: 9-line block ×6, first 2 shown]
	v_lshlrev_b32_e32 v13, 24, v40
	v_mov_b32_e32 v12, v15
	v_cmp_gt_i64_e64 s[12:13], 0, v[12:13]
	v_not_b32_e32 v12, v13
	v_ashrrev_i32_e32 v12, 31, v12
	v_xor_b32_e32 v13, s13, v12
	v_xor_b32_e32 v12, s12, v12
	ds_read_b32 v31, v39 offset:64
	v_and_b32_e32 v12, v41, v12
	v_and_b32_e32 v13, v14, v13
	v_mbcnt_lo_u32_b32 v14, v12, 0
	v_mbcnt_hi_u32_b32 v40, v13, v14
	v_cmp_eq_u32_e64 s[12:13], 0, v40
	v_cmp_ne_u64_e64 s[14:15], 0, v[12:13]
	v_add_u32_e32 v38, 64, v3
	s_and_b64 s[14:15], s[14:15], s[12:13]
	; wave barrier
	s_and_saveexec_b64 s[12:13], s[14:15]
	s_cbranch_execz .LBB14_25
; %bb.24:
	v_bcnt_u32_b32 v12, v12, 0
	v_bcnt_u32_b32 v12, v13, v12
	s_waitcnt lgkmcnt(0)
	v_add_u32_e32 v12, v31, v12
	ds_write_b32 v39, v12 offset:64
.LBB14_25:
	s_or_b64 exec, exec, s[12:13]
	; wave barrier
	s_waitcnt lgkmcnt(0)
	s_barrier
	ds_read2_b32 v[14:15], v3 offset0:16 offset1:17
	ds_read2_b32 v[12:13], v38 offset0:2 offset1:3
	ds_read_b32 v41, v38 offset:16
	v_cmp_lt_u32_e64 s[20:21], 31, v4
	s_waitcnt lgkmcnt(1)
	v_add3_u32 v42, v15, v14, v12
	s_waitcnt lgkmcnt(0)
	v_add3_u32 v41, v42, v13, v41
	v_and_b32_e32 v42, 15, v4
	v_cmp_eq_u32_e64 s[12:13], 0, v42
	v_mov_b32_dpp v43, v41 row_shr:1 row_mask:0xf bank_mask:0xf
	v_cmp_lt_u32_e64 s[14:15], 1, v42
	v_cndmask_b32_e64 v43, v43, 0, s[12:13]
	v_add_u32_e32 v41, v43, v41
	v_cmp_lt_u32_e64 s[16:17], 3, v42
	v_cmp_lt_u32_e64 s[18:19], 7, v42
	v_mov_b32_dpp v43, v41 row_shr:2 row_mask:0xf bank_mask:0xf
	v_cndmask_b32_e64 v43, 0, v43, s[14:15]
	v_add_u32_e32 v41, v41, v43
	s_nop 1
	v_mov_b32_dpp v43, v41 row_shr:4 row_mask:0xf bank_mask:0xf
	v_cndmask_b32_e64 v43, 0, v43, s[16:17]
	v_add_u32_e32 v41, v41, v43
	s_nop 1
	v_mov_b32_dpp v43, v41 row_shr:8 row_mask:0xf bank_mask:0xf
	v_cndmask_b32_e64 v42, 0, v43, s[18:19]
	v_add_u32_e32 v41, v41, v42
	v_bfe_i32 v43, v4, 4, 1
	s_nop 0
	v_mov_b32_dpp v42, v41 row_bcast:15 row_mask:0xf bank_mask:0xf
	v_and_b32_e32 v42, v43, v42
	v_add_u32_e32 v41, v41, v42
	v_and_b32_e32 v43, 63, v2
	s_nop 0
	v_mov_b32_dpp v42, v41 row_bcast:31 row_mask:0xf bank_mask:0xf
	v_cndmask_b32_e64 v42, 0, v42, s[20:21]
	v_add_u32_e32 v41, v41, v42
	v_lshrrev_b32_e32 v42, 6, v2
	v_cmp_eq_u32_e64 s[20:21], 63, v43
	s_and_saveexec_b64 s[22:23], s[20:21]
	s_cbranch_execz .LBB14_27
; %bb.26:
	v_lshlrev_b32_e32 v43, 2, v42
	ds_write_b32 v43, v41
.LBB14_27:
	s_or_b64 exec, exec, s[22:23]
	v_cmp_gt_u32_e64 s[20:21], 16, v2
	s_waitcnt lgkmcnt(0)
	s_barrier
	s_and_saveexec_b64 s[22:23], s[20:21]
	s_cbranch_execz .LBB14_29
; %bb.28:
	v_lshlrev_b32_e32 v43, 2, v2
	ds_read_b32 v44, v43
	s_waitcnt lgkmcnt(0)
	s_nop 0
	v_mov_b32_dpp v45, v44 row_shr:1 row_mask:0xf bank_mask:0xf
	v_cndmask_b32_e64 v45, v45, 0, s[12:13]
	v_add_u32_e32 v44, v45, v44
	s_nop 1
	v_mov_b32_dpp v45, v44 row_shr:2 row_mask:0xf bank_mask:0xf
	v_cndmask_b32_e64 v45, 0, v45, s[14:15]
	v_add_u32_e32 v44, v44, v45
	;; [unrolled: 4-line block ×4, first 2 shown]
	ds_write_b32 v43, v44
.LBB14_29:
	s_or_b64 exec, exec, s[22:23]
	v_cmp_lt_u32_e64 s[12:13], 63, v2
	v_mov_b32_e32 v43, 0
	s_waitcnt lgkmcnt(0)
	s_barrier
	s_and_saveexec_b64 s[14:15], s[12:13]
	s_cbranch_execz .LBB14_31
; %bb.30:
	v_lshl_add_u32 v42, v42, 2, -4
	ds_read_b32 v43, v42
.LBB14_31:
	s_or_b64 exec, exec, s[14:15]
	v_add_u32_e32 v42, -1, v4
	v_and_b32_e32 v44, 64, v4
	v_cmp_lt_i32_e64 s[12:13], v42, v44
	s_waitcnt lgkmcnt(0)
	v_add_u32_e32 v41, v43, v41
	v_cndmask_b32_e64 v42, v42, v4, s[12:13]
	v_lshlrev_b32_e32 v42, 2, v42
	ds_bpermute_b32 v41, v42, v41
	v_cmp_eq_u32_e64 s[12:13], 0, v4
	s_waitcnt lgkmcnt(0)
	s_nop 0
	v_cndmask_b32_e64 v41, v41, v43, s[12:13]
	v_cmp_ne_u32_e64 s[12:13], 0, v2
	s_nop 1
	v_cndmask_b32_e64 v41, 0, v41, s[12:13]
	v_add_u32_e32 v14, v41, v14
	v_add_u32_e32 v15, v14, v15
	;; [unrolled: 1-line block ×4, first 2 shown]
	ds_write2_b32 v3, v41, v14 offset0:16 offset1:17
	ds_write2_b32 v38, v15, v12 offset0:2 offset1:3
	ds_write_b32 v38, v13 offset:16
	s_waitcnt lgkmcnt(0)
	s_barrier
	ds_read_b32 v3, v7 offset:64
	ds_read_b32 v15, v26 offset:64
	;; [unrolled: 1-line block ×6, first 2 shown]
	s_movk_i32 s12, 0x100
	v_cmp_gt_u32_e64 s[12:13], s12, v2
	v_mov_b64_e32 v[12:13], 0
                                        ; implicit-def: $vgpr14
	s_and_saveexec_b64 s[16:17], s[12:13]
	s_cbranch_execz .LBB14_35
; %bb.32:
	v_mul_u32_u24_e32 v7, 17, v2
	v_lshlrev_b32_e32 v13, 2, v7
	ds_read_b32 v12, v13 offset:64
	s_movk_i32 s14, 0xff
	v_cmp_ne_u32_e64 s[14:15], s14, v2
	v_mov_b32_e32 v7, 0x1800
	s_and_saveexec_b64 s[18:19], s[14:15]
	s_cbranch_execz .LBB14_34
; %bb.33:
	ds_read_b32 v7, v13 offset:132
.LBB14_34:
	s_or_b64 exec, exec, s[18:19]
	s_waitcnt lgkmcnt(0)
	v_sub_u32_e32 v14, v7, v12
	v_mov_b32_e32 v13, 0
.LBB14_35:
	s_or_b64 exec, exec, s[16:17]
	s_waitcnt lgkmcnt(5)
	v_add_u32_e32 v3, v3, v24
	s_waitcnt lgkmcnt(4)
	v_add3_u32 v15, v27, v25, v15
	s_waitcnt lgkmcnt(3)
	v_add3_u32 v24, v30, v28, v26
	v_lshlrev_b32_e32 v28, 3, v3
	s_waitcnt lgkmcnt(0)
	s_barrier
	ds_write_b64 v28, v[8:9] offset:2048
	v_lshlrev_b32_e32 v8, 3, v15
	v_add3_u32 v25, v34, v32, v29
	ds_write_b64 v8, v[10:11] offset:2048
	v_lshlrev_b32_e32 v8, 3, v24
	v_add3_u32 v26, v37, v35, v33
	;; [unrolled: 3-line block ×3, first 2 shown]
	ds_write_b64 v8, v[18:19] offset:2048
	v_lshlrev_b32_e32 v8, 3, v26
	v_mov_b32_e32 v7, v5
	ds_write_b64 v8, v[20:21] offset:2048
	v_lshlrev_b32_e32 v8, 3, v27
	ds_write_b64 v8, v[22:23] offset:2048
	s_waitcnt lgkmcnt(0)
	s_barrier
	s_and_saveexec_b64 s[16:17], s[12:13]
	s_cbranch_execz .LBB14_45
; %bb.36:
	v_lshl_or_b32 v10, s2, 8, v2
	v_mov_b32_e32 v11, 0
	v_lshl_add_u64 v[8:9], v[10:11], 2, s[48:49]
	v_or_b32_e32 v10, 2.0, v14
	s_mov_b64 s[18:19], 0
	s_brev_b32 s24, 1
	s_mov_b32 s25, s2
	v_mov_b32_e32 v18, 0
	global_store_dword v[8:9], v10, off sc1
                                        ; implicit-def: $sgpr14_sgpr15
	s_branch .LBB14_38
.LBB14_37:                              ;   in Loop: Header=BB14_38 Depth=1
	s_or_b64 exec, exec, s[20:21]
	v_and_b32_e32 v16, 0x3fffffff, v19
	v_add_u32_e32 v18, v16, v18
	v_cmp_eq_u32_e64 s[14:15], s24, v10
	s_and_b64 s[20:21], exec, s[14:15]
	s_or_b64 s[18:19], s[20:21], s[18:19]
	s_andn2_b64 exec, exec, s[18:19]
	s_cbranch_execz .LBB14_44
.LBB14_38:                              ; =>This Loop Header: Depth=1
                                        ;     Child Loop BB14_41 Depth 2
	s_or_b64 s[14:15], s[14:15], exec
	s_cmp_eq_u32 s25, 0
	s_cbranch_scc1 .LBB14_43
; %bb.39:                               ;   in Loop: Header=BB14_38 Depth=1
	s_add_i32 s25, s25, -1
	v_lshl_or_b32 v10, s25, 8, v2
	v_lshl_add_u64 v[16:17], v[10:11], 2, s[48:49]
	global_load_dword v19, v[16:17], off sc1
	s_waitcnt vmcnt(0)
	v_and_b32_e32 v10, -2.0, v19
	v_cmp_eq_u32_e64 s[14:15], 0, v10
	s_and_saveexec_b64 s[20:21], s[14:15]
	s_cbranch_execz .LBB14_37
; %bb.40:                               ;   in Loop: Header=BB14_38 Depth=1
	s_mov_b64 s[22:23], 0
.LBB14_41:                              ;   Parent Loop BB14_38 Depth=1
                                        ; =>  This Inner Loop Header: Depth=2
	global_load_dword v19, v[16:17], off sc1
	s_waitcnt vmcnt(0)
	v_and_b32_e32 v10, -2.0, v19
	v_cmp_ne_u32_e64 s[14:15], 0, v10
	s_or_b64 s[22:23], s[14:15], s[22:23]
	s_andn2_b64 exec, exec, s[22:23]
	s_cbranch_execnz .LBB14_41
; %bb.42:                               ;   in Loop: Header=BB14_38 Depth=1
	s_or_b64 exec, exec, s[22:23]
	s_branch .LBB14_37
.LBB14_43:                              ;   in Loop: Header=BB14_38 Depth=1
                                        ; implicit-def: $sgpr25
	s_and_b64 s[20:21], exec, s[14:15]
	s_or_b64 s[18:19], s[20:21], s[18:19]
	s_andn2_b64 exec, exec, s[18:19]
	s_cbranch_execnz .LBB14_38
.LBB14_44:
	s_or_b64 exec, exec, s[18:19]
	v_add_u32_e32 v10, v18, v14
	v_or_b32_e32 v10, 0x80000000, v10
	global_store_dword v[8:9], v10, off sc1
	v_lshlrev_b32_e32 v16, 3, v2
	global_load_dwordx2 v[8:9], v16, s[28:29]
	v_sub_co_u32_e64 v10, s[14:15], v18, v12
	s_nop 1
	v_subb_co_u32_e64 v11, s[14:15], 0, v13, s[14:15]
	s_waitcnt vmcnt(0)
	v_lshl_add_u64 v[8:9], v[10:11], 0, v[8:9]
	ds_write_b64 v16, v[8:9]
.LBB14_45:
	s_or_b64 exec, exec, s[16:17]
	v_cmp_gt_u32_e64 s[14:15], s33, v2
	v_lshlrev_b32_e32 v8, 3, v2
	s_waitcnt lgkmcnt(0)
	s_barrier
	s_and_saveexec_b64 s[16:17], s[14:15]
	s_cbranch_execz .LBB14_47
; %bb.46:
	ds_read_b64 v[10:11], v8 offset:2048
	s_waitcnt lgkmcnt(0)
	v_lshrrev_b64 v[16:17], s44, v[10:11]
	v_and_b32_e32 v9, s35, v16
	v_lshlrev_b32_e32 v9, 3, v9
	ds_read_b64 v[16:17], v9
	v_mov_b32_e32 v9, 0
	v_xor_b32_e32 v11, 0x7fffffff, v11
	v_not_b32_e32 v10, v10
	s_waitcnt lgkmcnt(0)
	v_lshl_add_u64 v[16:17], v[16:17], 3, s[38:39]
	v_lshl_add_u64 v[16:17], v[16:17], 0, v[8:9]
	global_store_dwordx2 v[16:17], v[10:11], off
.LBB14_47:
	s_or_b64 exec, exec, s[16:17]
	v_or_b32_e32 v9, 0x400, v2
	v_cmp_gt_u32_e64 s[16:17], s33, v9
	s_and_saveexec_b64 s[18:19], s[16:17]
	s_cbranch_execz .LBB14_49
; %bb.48:
	ds_read_b64 v[10:11], v8 offset:10240
	v_lshlrev_b32_e32 v18, 3, v9
	v_mov_b32_e32 v19, 0
	s_waitcnt lgkmcnt(0)
	v_lshrrev_b64 v[16:17], s44, v[10:11]
	v_and_b32_e32 v16, s35, v16
	v_lshlrev_b32_e32 v16, 3, v16
	ds_read_b64 v[16:17], v16
	v_xor_b32_e32 v11, 0x7fffffff, v11
	v_not_b32_e32 v10, v10
	s_waitcnt lgkmcnt(0)
	v_lshl_add_u64 v[16:17], v[16:17], 3, s[38:39]
	v_lshl_add_u64 v[16:17], v[16:17], 0, v[18:19]
	global_store_dwordx2 v[16:17], v[10:11], off
.LBB14_49:
	s_or_b64 exec, exec, s[18:19]
	v_or_b32_e32 v9, 0x800, v2
	v_cmp_gt_u32_e64 s[18:19], s33, v9
	s_and_saveexec_b64 s[20:21], s[18:19]
	s_cbranch_execz .LBB14_51
; %bb.50:
	ds_read_b64 v[10:11], v8 offset:18432
	v_lshlrev_b32_e32 v18, 3, v9
	v_mov_b32_e32 v19, 0
	s_waitcnt lgkmcnt(0)
	v_lshrrev_b64 v[16:17], s44, v[10:11]
	v_and_b32_e32 v16, s35, v16
	v_lshlrev_b32_e32 v16, 3, v16
	ds_read_b64 v[16:17], v16
	v_xor_b32_e32 v11, 0x7fffffff, v11
	v_not_b32_e32 v10, v10
	s_waitcnt lgkmcnt(0)
	v_lshl_add_u64 v[16:17], v[16:17], 3, s[38:39]
	v_lshl_add_u64 v[16:17], v[16:17], 0, v[18:19]
	global_store_dwordx2 v[16:17], v[10:11], off
.LBB14_51:
	;; [unrolled: 21-line block ×5, first 2 shown]
	s_or_b64 exec, exec, s[46:47]
	s_add_u32 s46, s40, s34
	s_addc_u32 s47, s41, 0
	v_lshl_add_u64 v[4:5], s[46:47], 0, v[4:5]
	v_lshl_add_u64 v[4:5], v[4:5], 0, v[6:7]
                                        ; implicit-def: $vgpr6
	s_and_saveexec_b64 s[46:47], vcc
	s_xor_b64 s[46:47], exec, s[46:47]
	s_cbranch_execnz .LBB14_127
; %bb.58:
	s_or_b64 exec, exec, s[46:47]
                                        ; implicit-def: $vgpr7
	s_and_saveexec_b64 s[46:47], s[26:27]
	s_cbranch_execnz .LBB14_128
.LBB14_59:
	s_or_b64 exec, exec, s[46:47]
                                        ; implicit-def: $vgpr9
	s_and_saveexec_b64 s[26:27], s[4:5]
	s_cbranch_execnz .LBB14_129
.LBB14_60:
	s_or_b64 exec, exec, s[26:27]
                                        ; implicit-def: $vgpr11
	s_and_saveexec_b64 s[4:5], s[6:7]
	s_cbranch_execnz .LBB14_130
.LBB14_61:
	s_or_b64 exec, exec, s[4:5]
                                        ; implicit-def: $vgpr19
	s_and_saveexec_b64 s[4:5], s[8:9]
	s_cbranch_execnz .LBB14_131
.LBB14_62:
	s_or_b64 exec, exec, s[4:5]
                                        ; implicit-def: $vgpr21
	s_and_saveexec_b64 s[4:5], s[10:11]
	s_cbranch_execz .LBB14_64
.LBB14_63:
	global_load_ubyte v21, v[4:5], off offset:320
.LBB14_64:
	s_or_b64 exec, exec, s[4:5]
	v_mov_b32_e32 v17, 0
	v_mov_b32_e32 v22, 0
	s_and_saveexec_b64 s[4:5], s[14:15]
	s_cbranch_execz .LBB14_66
; %bb.65:
	ds_read_b64 v[4:5], v8 offset:2048
	s_waitcnt lgkmcnt(0)
	v_lshrrev_b64 v[4:5], s44, v[4:5]
	v_and_b32_e32 v22, s35, v4
.LBB14_66:
	s_or_b64 exec, exec, s[4:5]
	s_and_saveexec_b64 s[4:5], s[16:17]
	s_cbranch_execz .LBB14_68
; %bb.67:
	ds_read_b64 v[4:5], v8 offset:10240
	s_waitcnt lgkmcnt(0)
	v_lshrrev_b64 v[4:5], s44, v[4:5]
	v_and_b32_e32 v17, s35, v4
.LBB14_68:
	s_or_b64 exec, exec, s[4:5]
	v_mov_b32_e32 v5, 0
	v_mov_b32_e32 v20, 0
	s_and_saveexec_b64 s[4:5], s[18:19]
	s_cbranch_execz .LBB14_70
; %bb.69:
	ds_read_b64 v[28:29], v8 offset:18432
	s_waitcnt lgkmcnt(0)
	v_lshrrev_b64 v[28:29], s44, v[28:29]
	v_and_b32_e32 v20, s35, v28
.LBB14_70:
	s_or_b64 exec, exec, s[4:5]
	s_and_saveexec_b64 s[4:5], s[20:21]
	s_cbranch_execz .LBB14_72
; %bb.71:
	ds_read_b64 v[4:5], v8 offset:26624
	s_waitcnt lgkmcnt(0)
	v_lshrrev_b64 v[4:5], s44, v[4:5]
	v_and_b32_e32 v5, s35, v4
.LBB14_72:
	;; [unrolled: 20-line block ×3, first 2 shown]
	s_or_b64 exec, exec, s[4:5]
	s_barrier
	s_waitcnt vmcnt(0)
	ds_write_b8 v3, v6 offset:2048
	ds_write_b8 v15, v7 offset:2048
	;; [unrolled: 1-line block ×6, first 2 shown]
	s_waitcnt lgkmcnt(0)
	s_barrier
	s_and_saveexec_b64 s[4:5], s[14:15]
	s_cbranch_execnz .LBB14_132
; %bb.77:
	s_or_b64 exec, exec, s[4:5]
	s_and_saveexec_b64 s[4:5], s[16:17]
	s_cbranch_execnz .LBB14_133
.LBB14_78:
	s_or_b64 exec, exec, s[4:5]
	s_and_saveexec_b64 s[4:5], s[18:19]
	s_cbranch_execnz .LBB14_134
.LBB14_79:
	s_or_b64 exec, exec, s[4:5]
	s_and_saveexec_b64 s[4:5], s[20:21]
	s_cbranch_execnz .LBB14_135
.LBB14_80:
	s_or_b64 exec, exec, s[4:5]
	s_and_saveexec_b64 s[4:5], s[22:23]
	s_cbranch_execnz .LBB14_136
.LBB14_81:
	s_or_b64 exec, exec, s[4:5]
	s_and_saveexec_b64 s[4:5], s[24:25]
	s_cbranch_execz .LBB14_83
.LBB14_82:
	v_lshlrev_b32_e32 v3, 3, v4
	ds_read_b64 v[4:5], v3
	ds_read_u8 v3, v2 offset:7168
	v_mov_b32_e32 v17, 0
	s_waitcnt lgkmcnt(1)
	v_lshl_add_u64 v[4:5], s[42:43], 0, v[4:5]
	v_lshl_add_u64 v[4:5], v[4:5], 0, v[16:17]
	s_waitcnt lgkmcnt(0)
	global_store_byte v[4:5], v3, off
.LBB14_83:
	s_or_b64 exec, exec, s[4:5]
	s_add_i32 s3, s3, -1
	s_cmp_eq_u32 s2, s3
	s_cselect_b64 s[4:5], -1, 0
	s_and_b64 s[6:7], s[12:13], s[4:5]
	s_mov_b64 s[4:5], 0
	s_mov_b64 s[10:11], 0
                                        ; implicit-def: $vgpr4_vgpr5
	s_and_saveexec_b64 s[8:9], s[6:7]
	s_xor_b64 s[6:7], exec, s[8:9]
; %bb.84:
	v_mov_b32_e32 v15, 0
	s_mov_b64 s[10:11], exec
	v_lshl_add_u64 v[4:5], v[12:13], 0, v[14:15]
	v_mov_b32_e32 v3, v15
; %bb.85:
	s_or_b64 exec, exec, s[6:7]
	s_and_b64 vcc, exec, s[4:5]
	s_cbranch_vccnz .LBB14_87
	s_branch .LBB14_124
.LBB14_86:
	s_mov_b64 s[10:11], 0
                                        ; implicit-def: $vgpr4_vgpr5
                                        ; implicit-def: $vgpr2_vgpr3
	s_cbranch_execz .LBB14_124
.LBB14_87:
	s_mov_b32 s35, 0
	v_and_b32_e32 v2, 0x3ff, v0
	s_lshl_b64 s[4:5], s[34:35], 3
	s_add_u32 s4, s36, s4
	v_mov_b32_e32 v5, 0
	v_mbcnt_hi_u32_b32 v4, -1, v1
	v_and_b32_e32 v1, 0x3c0, v2
	s_addc_u32 s5, s37, s5
	v_mul_u32_u24_e32 v6, 6, v1
	v_lshlrev_b32_e32 v8, 3, v4
	v_mov_b32_e32 v9, v5
	v_lshl_add_u64 v[8:9], s[4:5], 0, v[8:9]
	v_lshlrev_b32_e32 v10, 3, v6
	v_mov_b32_e32 v11, v5
	v_lshl_add_u64 v[18:19], v[8:9], 0, v[10:11]
	global_load_dwordx2 v[20:21], v[18:19], off
	s_load_dword s4, s[0:1], 0x5c
	s_load_dword s3, s[0:1], 0x50
	s_add_u32 s0, s0, 0x50
	s_addc_u32 s1, s1, 0
	v_mul_u32_u24_e32 v3, 5, v2
	s_waitcnt lgkmcnt(0)
	s_lshr_b32 s4, s4, 16
	s_cmp_lt_u32 s2, s3
	s_cselect_b32 s5, 12, 18
	s_add_u32 s0, s0, s5
	s_addc_u32 s1, s1, 0
	global_load_ushort v7, v5, s[0:1]
	v_lshlrev_b32_e32 v3, 2, v3
	ds_write2_b32 v3, v5, v5 offset0:16 offset1:17
	ds_write2_b32 v3, v5, v5 offset0:18 offset1:19
	ds_write_b32 v3, v5 offset:80
	global_load_dwordx2 v[8:9], v[18:19], off offset:512
	global_load_dwordx2 v[10:11], v[18:19], off offset:1024
	;; [unrolled: 1-line block ×5, first 2 shown]
	v_bfe_u32 v1, v0, 10, 10
	v_bfe_u32 v0, v0, 20, 10
	v_mad_u32_u24 v32, v0, s4, v1
	s_lshl_b32 s0, -1, s45
	s_not_b32 s14, s0
	v_mov_b32_e32 v23, v5
	v_mov_b32_e32 v24, v5
	;; [unrolled: 1-line block ×5, first 2 shown]
	s_waitcnt lgkmcnt(0)
	s_barrier
	s_waitcnt lgkmcnt(0)
	; wave barrier
	s_waitcnt vmcnt(6)
	v_xor_b32_e32 v1, 0x7fffffff, v21
	v_not_b32_e32 v0, v20
	v_lshrrev_b64 v[18:19], s44, v[0:1]
	v_and_b32_e32 v33, s14, v18
	v_and_b32_e32 v22, 1, v33
	v_lshlrev_b32_e32 v25, 30, v33
	v_lshlrev_b32_e32 v27, 29, v33
	v_lshlrev_b32_e32 v29, 28, v33
	v_lshl_add_u64 v[20:21], v[22:23], 0, -1
	v_cmp_ne_u32_e32 vcc, 0, v22
	s_waitcnt vmcnt(5)
	v_mad_u64_u32 v[18:19], s[0:1], v32, v7, v[2:3]
	v_not_b32_e32 v7, v25
	v_cmp_gt_i64_e64 s[0:1], 0, v[24:25]
	v_not_b32_e32 v19, v27
	v_cmp_gt_i64_e64 s[6:7], 0, v[28:29]
	v_lshrrev_b32_e32 v28, 6, v18
	v_xor_b32_e32 v18, vcc_hi, v21
	v_xor_b32_e32 v20, vcc_lo, v20
	v_ashrrev_i32_e32 v21, 31, v7
	v_lshlrev_b32_e32 v31, 27, v33
	v_cmp_gt_i64_e64 s[4:5], 0, v[26:27]
	v_not_b32_e32 v22, v29
	v_ashrrev_i32_e32 v19, 31, v19
	v_and_b32_e32 v18, exec_hi, v18
	v_and_b32_e32 v20, exec_lo, v20
	v_xor_b32_e32 v24, s1, v21
	v_xor_b32_e32 v21, s0, v21
	v_not_b32_e32 v23, v31
	v_ashrrev_i32_e32 v22, 31, v22
	v_xor_b32_e32 v25, s5, v19
	v_xor_b32_e32 v19, s4, v19
	v_and_b32_e32 v18, v18, v24
	v_and_b32_e32 v20, v20, v21
	v_cmp_gt_i64_e64 s[8:9], 0, v[30:31]
	v_ashrrev_i32_e32 v23, 31, v23
	v_xor_b32_e32 v26, s7, v22
	v_xor_b32_e32 v22, s6, v22
	v_and_b32_e32 v18, v18, v25
	v_and_b32_e32 v19, v20, v19
	v_xor_b32_e32 v27, s9, v23
	v_xor_b32_e32 v23, s8, v23
	v_and_b32_e32 v18, v18, v26
	v_and_b32_e32 v19, v19, v22
	;; [unrolled: 1-line block ×4, first 2 shown]
	v_lshlrev_b32_e32 v19, 26, v33
	v_mov_b32_e32 v18, v5
	v_cmp_gt_i64_e32 vcc, 0, v[18:19]
	v_not_b32_e32 v18, v19
	v_ashrrev_i32_e32 v18, 31, v18
	v_xor_b32_e32 v19, vcc_hi, v18
	v_xor_b32_e32 v18, vcc_lo, v18
	v_and_b32_e32 v20, v20, v19
	v_and_b32_e32 v21, v21, v18
	v_lshlrev_b32_e32 v19, 25, v33
	v_mov_b32_e32 v18, v5
	v_cmp_gt_i64_e32 vcc, 0, v[18:19]
	v_not_b32_e32 v18, v19
	v_ashrrev_i32_e32 v18, 31, v18
	v_xor_b32_e32 v19, vcc_hi, v18
	v_xor_b32_e32 v18, vcc_lo, v18
	v_and_b32_e32 v20, v20, v19
	v_and_b32_e32 v21, v21, v18
	;; [unrolled: 9-line block ×3, first 2 shown]
	v_mbcnt_lo_u32_b32 v20, v18, 0
	v_mbcnt_hi_u32_b32 v22, v19, v20
	v_lshl_add_u32 v34, v33, 4, v33
	v_cmp_eq_u32_e32 vcc, 0, v22
	v_cmp_ne_u64_e64 s[0:1], 0, v[18:19]
	v_add_lshl_u32 v7, v28, v34, 2
	s_and_b64 s[4:5], s[0:1], vcc
	s_and_saveexec_b64 s[0:1], s[4:5]
	s_cbranch_execz .LBB14_89
; %bb.88:
	v_bcnt_u32_b32 v18, v18, 0
	v_bcnt_u32_b32 v18, v19, v18
	ds_write_b32 v7, v18 offset:64
.LBB14_89:
	s_or_b64 exec, exec, s[0:1]
	s_waitcnt vmcnt(4)
	v_xor_b32_e32 v9, 0x7fffffff, v9
	v_not_b32_e32 v8, v8
	v_lshrrev_b64 v[18:19], s44, v[8:9]
	v_and_b32_e32 v25, s14, v18
	v_lshl_add_u32 v18, v25, 4, v25
	v_add_lshl_u32 v24, v28, v18, 2
	v_and_b32_e32 v18, 1, v25
	v_mov_b32_e32 v19, v5
	v_lshl_add_u64 v[20:21], v[18:19], 0, -1
	v_cmp_ne_u32_e32 vcc, 0, v18
	; wave barrier
	s_nop 1
	v_xor_b32_e32 v18, vcc_hi, v21
	v_xor_b32_e32 v19, vcc_lo, v20
	v_and_b32_e32 v20, exec_hi, v18
	v_and_b32_e32 v21, exec_lo, v19
	v_lshlrev_b32_e32 v19, 30, v25
	v_mov_b32_e32 v18, v5
	v_cmp_gt_i64_e32 vcc, 0, v[18:19]
	v_not_b32_e32 v18, v19
	v_ashrrev_i32_e32 v18, 31, v18
	v_xor_b32_e32 v19, vcc_hi, v18
	v_xor_b32_e32 v18, vcc_lo, v18
	v_and_b32_e32 v20, v20, v19
	v_and_b32_e32 v21, v21, v18
	v_lshlrev_b32_e32 v19, 29, v25
	v_mov_b32_e32 v18, v5
	v_cmp_gt_i64_e32 vcc, 0, v[18:19]
	v_not_b32_e32 v18, v19
	v_ashrrev_i32_e32 v18, 31, v18
	v_xor_b32_e32 v19, vcc_hi, v18
	v_xor_b32_e32 v18, vcc_lo, v18
	v_and_b32_e32 v20, v20, v19
	v_and_b32_e32 v21, v21, v18
	;; [unrolled: 9-line block ×6, first 2 shown]
	v_lshlrev_b32_e32 v19, 24, v25
	v_mov_b32_e32 v18, v5
	v_cmp_gt_i64_e32 vcc, 0, v[18:19]
	v_not_b32_e32 v18, v19
	v_ashrrev_i32_e32 v18, 31, v18
	v_xor_b32_e32 v19, vcc_hi, v18
	v_xor_b32_e32 v18, vcc_lo, v18
	ds_read_b32 v23, v24 offset:64
	v_and_b32_e32 v18, v21, v18
	v_and_b32_e32 v19, v20, v19
	v_mbcnt_lo_u32_b32 v20, v18, 0
	v_mbcnt_hi_u32_b32 v25, v19, v20
	v_cmp_eq_u32_e32 vcc, 0, v25
	v_cmp_ne_u64_e64 s[0:1], 0, v[18:19]
	s_and_b64 s[4:5], s[0:1], vcc
	; wave barrier
	s_and_saveexec_b64 s[0:1], s[4:5]
	s_cbranch_execz .LBB14_91
; %bb.90:
	v_bcnt_u32_b32 v18, v18, 0
	v_bcnt_u32_b32 v18, v19, v18
	s_waitcnt lgkmcnt(0)
	v_add_u32_e32 v18, v23, v18
	ds_write_b32 v24, v18 offset:64
.LBB14_91:
	s_or_b64 exec, exec, s[0:1]
	s_waitcnt vmcnt(3)
	v_xor_b32_e32 v11, 0x7fffffff, v11
	v_not_b32_e32 v10, v10
	v_lshrrev_b64 v[18:19], s44, v[10:11]
	v_and_b32_e32 v29, s14, v18
	v_lshl_add_u32 v18, v29, 4, v29
	v_add_lshl_u32 v27, v28, v18, 2
	v_and_b32_e32 v18, 1, v29
	v_mov_b32_e32 v19, 0
	v_lshl_add_u64 v[20:21], v[18:19], 0, -1
	v_cmp_ne_u32_e32 vcc, 0, v18
	; wave barrier
	s_nop 1
	v_xor_b32_e32 v20, vcc_lo, v20
	v_xor_b32_e32 v18, vcc_hi, v21
	v_and_b32_e32 v30, exec_lo, v20
	v_lshlrev_b32_e32 v21, 30, v29
	v_mov_b32_e32 v20, v19
	v_cmp_gt_i64_e32 vcc, 0, v[20:21]
	v_not_b32_e32 v20, v21
	v_ashrrev_i32_e32 v20, 31, v20
	v_and_b32_e32 v18, exec_hi, v18
	v_xor_b32_e32 v21, vcc_hi, v20
	v_xor_b32_e32 v20, vcc_lo, v20
	v_and_b32_e32 v18, v18, v21
	v_and_b32_e32 v30, v30, v20
	v_lshlrev_b32_e32 v21, 29, v29
	v_mov_b32_e32 v20, v19
	v_cmp_gt_i64_e32 vcc, 0, v[20:21]
	v_not_b32_e32 v20, v21
	v_ashrrev_i32_e32 v20, 31, v20
	v_xor_b32_e32 v21, vcc_hi, v20
	v_xor_b32_e32 v20, vcc_lo, v20
	v_and_b32_e32 v18, v18, v21
	v_and_b32_e32 v30, v30, v20
	v_lshlrev_b32_e32 v21, 28, v29
	v_mov_b32_e32 v20, v19
	v_cmp_gt_i64_e32 vcc, 0, v[20:21]
	v_not_b32_e32 v20, v21
	v_ashrrev_i32_e32 v20, 31, v20
	;; [unrolled: 9-line block ×6, first 2 shown]
	v_xor_b32_e32 v21, vcc_hi, v20
	v_xor_b32_e32 v20, vcc_lo, v20
	ds_read_b32 v26, v27 offset:64
	v_and_b32_e32 v20, v30, v20
	v_and_b32_e32 v21, v18, v21
	v_mbcnt_lo_u32_b32 v18, v20, 0
	v_mbcnt_hi_u32_b32 v29, v21, v18
	v_cmp_eq_u32_e32 vcc, 0, v29
	v_cmp_ne_u64_e64 s[0:1], 0, v[20:21]
	s_and_b64 s[4:5], s[0:1], vcc
	; wave barrier
	s_and_saveexec_b64 s[0:1], s[4:5]
	s_cbranch_execz .LBB14_93
; %bb.92:
	v_bcnt_u32_b32 v18, v20, 0
	v_bcnt_u32_b32 v18, v21, v18
	s_waitcnt lgkmcnt(0)
	v_add_u32_e32 v18, v26, v18
	ds_write_b32 v27, v18 offset:64
.LBB14_93:
	s_or_b64 exec, exec, s[0:1]
	s_waitcnt vmcnt(2)
	v_xor_b32_e32 v15, 0x7fffffff, v15
	v_not_b32_e32 v14, v14
	v_lshrrev_b64 v[20:21], s44, v[14:15]
	v_and_b32_e32 v32, s14, v20
	v_lshl_add_u32 v18, v32, 4, v32
	v_add_lshl_u32 v31, v28, v18, 2
	v_and_b32_e32 v18, 1, v32
	v_lshl_add_u64 v[20:21], v[18:19], 0, -1
	v_cmp_ne_u32_e32 vcc, 0, v18
	; wave barrier
	s_nop 1
	v_xor_b32_e32 v20, vcc_lo, v20
	v_xor_b32_e32 v18, vcc_hi, v21
	v_and_b32_e32 v33, exec_lo, v20
	v_lshlrev_b32_e32 v21, 30, v32
	v_mov_b32_e32 v20, v19
	v_cmp_gt_i64_e32 vcc, 0, v[20:21]
	v_not_b32_e32 v20, v21
	v_ashrrev_i32_e32 v20, 31, v20
	v_and_b32_e32 v18, exec_hi, v18
	v_xor_b32_e32 v21, vcc_hi, v20
	v_xor_b32_e32 v20, vcc_lo, v20
	v_and_b32_e32 v18, v18, v21
	v_and_b32_e32 v33, v33, v20
	v_lshlrev_b32_e32 v21, 29, v32
	v_mov_b32_e32 v20, v19
	v_cmp_gt_i64_e32 vcc, 0, v[20:21]
	v_not_b32_e32 v20, v21
	v_ashrrev_i32_e32 v20, 31, v20
	v_xor_b32_e32 v21, vcc_hi, v20
	v_xor_b32_e32 v20, vcc_lo, v20
	v_and_b32_e32 v18, v18, v21
	v_and_b32_e32 v33, v33, v20
	v_lshlrev_b32_e32 v21, 28, v32
	v_mov_b32_e32 v20, v19
	v_cmp_gt_i64_e32 vcc, 0, v[20:21]
	v_not_b32_e32 v20, v21
	v_ashrrev_i32_e32 v20, 31, v20
	;; [unrolled: 9-line block ×5, first 2 shown]
	v_xor_b32_e32 v21, vcc_hi, v20
	v_xor_b32_e32 v20, vcc_lo, v20
	v_and_b32_e32 v18, v18, v21
	v_lshlrev_b32_e32 v21, 24, v32
	v_and_b32_e32 v33, v33, v20
	v_mov_b32_e32 v20, v19
	v_not_b32_e32 v19, v21
	v_cmp_gt_i64_e32 vcc, 0, v[20:21]
	v_ashrrev_i32_e32 v19, 31, v19
	ds_read_b32 v30, v31 offset:64
	v_xor_b32_e32 v20, vcc_hi, v19
	v_xor_b32_e32 v21, vcc_lo, v19
	v_and_b32_e32 v19, v18, v20
	v_and_b32_e32 v18, v33, v21
	v_mbcnt_lo_u32_b32 v20, v18, 0
	v_mbcnt_hi_u32_b32 v32, v19, v20
	v_cmp_eq_u32_e32 vcc, 0, v32
	v_cmp_ne_u64_e64 s[0:1], 0, v[18:19]
	s_and_b64 s[4:5], s[0:1], vcc
	; wave barrier
	s_and_saveexec_b64 s[0:1], s[4:5]
	s_cbranch_execz .LBB14_95
; %bb.94:
	v_bcnt_u32_b32 v18, v18, 0
	v_bcnt_u32_b32 v18, v19, v18
	s_waitcnt lgkmcnt(0)
	v_add_u32_e32 v18, v30, v18
	ds_write_b32 v31, v18 offset:64
.LBB14_95:
	s_or_b64 exec, exec, s[0:1]
	s_waitcnt vmcnt(1)
	v_xor_b32_e32 v19, 0x7fffffff, v17
	v_not_b32_e32 v18, v16
	v_lshrrev_b64 v[16:17], s44, v[18:19]
	v_and_b32_e32 v35, s14, v16
	v_lshl_add_u32 v16, v35, 4, v35
	v_add_lshl_u32 v34, v28, v16, 2
	v_and_b32_e32 v16, 1, v35
	v_mov_b32_e32 v17, 0
	v_lshl_add_u64 v[20:21], v[16:17], 0, -1
	v_cmp_ne_u32_e32 vcc, 0, v16
	; wave barrier
	s_nop 1
	v_xor_b32_e32 v20, vcc_lo, v20
	v_xor_b32_e32 v16, vcc_hi, v21
	v_and_b32_e32 v36, exec_lo, v20
	v_lshlrev_b32_e32 v21, 30, v35
	v_mov_b32_e32 v20, v17
	v_cmp_gt_i64_e32 vcc, 0, v[20:21]
	v_not_b32_e32 v20, v21
	v_ashrrev_i32_e32 v20, 31, v20
	v_and_b32_e32 v16, exec_hi, v16
	v_xor_b32_e32 v21, vcc_hi, v20
	v_xor_b32_e32 v20, vcc_lo, v20
	v_and_b32_e32 v16, v16, v21
	v_and_b32_e32 v36, v36, v20
	v_lshlrev_b32_e32 v21, 29, v35
	v_mov_b32_e32 v20, v17
	v_cmp_gt_i64_e32 vcc, 0, v[20:21]
	v_not_b32_e32 v20, v21
	v_ashrrev_i32_e32 v20, 31, v20
	v_xor_b32_e32 v21, vcc_hi, v20
	v_xor_b32_e32 v20, vcc_lo, v20
	v_and_b32_e32 v16, v16, v21
	v_and_b32_e32 v36, v36, v20
	v_lshlrev_b32_e32 v21, 28, v35
	v_mov_b32_e32 v20, v17
	v_cmp_gt_i64_e32 vcc, 0, v[20:21]
	v_not_b32_e32 v20, v21
	v_ashrrev_i32_e32 v20, 31, v20
	;; [unrolled: 9-line block ×6, first 2 shown]
	v_xor_b32_e32 v21, vcc_hi, v20
	v_xor_b32_e32 v20, vcc_lo, v20
	ds_read_b32 v33, v34 offset:64
	v_and_b32_e32 v20, v36, v20
	v_and_b32_e32 v21, v16, v21
	v_mbcnt_lo_u32_b32 v16, v20, 0
	v_mbcnt_hi_u32_b32 v35, v21, v16
	v_cmp_eq_u32_e32 vcc, 0, v35
	v_cmp_ne_u64_e64 s[0:1], 0, v[20:21]
	s_and_b64 s[4:5], s[0:1], vcc
	; wave barrier
	s_and_saveexec_b64 s[0:1], s[4:5]
	s_cbranch_execz .LBB14_97
; %bb.96:
	v_bcnt_u32_b32 v16, v20, 0
	v_bcnt_u32_b32 v16, v21, v16
	s_waitcnt lgkmcnt(0)
	v_add_u32_e32 v16, v33, v16
	ds_write_b32 v34, v16 offset:64
.LBB14_97:
	s_or_b64 exec, exec, s[0:1]
	s_waitcnt vmcnt(0)
	v_xor_b32_e32 v21, 0x7fffffff, v13
	v_not_b32_e32 v20, v12
	v_lshrrev_b64 v[12:13], s44, v[20:21]
	v_and_b32_e32 v38, s14, v12
	v_lshl_add_u32 v12, v38, 4, v38
	v_and_b32_e32 v16, 1, v38
	v_add_lshl_u32 v37, v28, v12, 2
	v_lshl_add_u64 v[12:13], v[16:17], 0, -1
	v_cmp_ne_u32_e32 vcc, 0, v16
	; wave barrier
	s_nop 1
	v_xor_b32_e32 v13, vcc_hi, v13
	v_xor_b32_e32 v12, vcc_lo, v12
	v_and_b32_e32 v16, exec_hi, v13
	v_and_b32_e32 v39, exec_lo, v12
	v_lshlrev_b32_e32 v13, 30, v38
	v_mov_b32_e32 v12, v17
	v_cmp_gt_i64_e32 vcc, 0, v[12:13]
	v_not_b32_e32 v12, v13
	v_ashrrev_i32_e32 v12, 31, v12
	v_xor_b32_e32 v13, vcc_hi, v12
	v_xor_b32_e32 v12, vcc_lo, v12
	v_and_b32_e32 v16, v16, v13
	v_and_b32_e32 v39, v39, v12
	v_lshlrev_b32_e32 v13, 29, v38
	v_mov_b32_e32 v12, v17
	v_cmp_gt_i64_e32 vcc, 0, v[12:13]
	v_not_b32_e32 v12, v13
	v_ashrrev_i32_e32 v12, 31, v12
	v_xor_b32_e32 v13, vcc_hi, v12
	v_xor_b32_e32 v12, vcc_lo, v12
	v_and_b32_e32 v16, v16, v13
	v_and_b32_e32 v39, v39, v12
	;; [unrolled: 9-line block ×6, first 2 shown]
	v_lshlrev_b32_e32 v13, 24, v38
	v_mov_b32_e32 v12, v17
	v_cmp_gt_i64_e32 vcc, 0, v[12:13]
	v_not_b32_e32 v12, v13
	v_ashrrev_i32_e32 v12, 31, v12
	v_xor_b32_e32 v13, vcc_hi, v12
	v_xor_b32_e32 v12, vcc_lo, v12
	ds_read_b32 v28, v37 offset:64
	v_and_b32_e32 v12, v39, v12
	v_and_b32_e32 v13, v16, v13
	v_mbcnt_lo_u32_b32 v16, v12, 0
	v_mbcnt_hi_u32_b32 v38, v13, v16
	v_cmp_eq_u32_e32 vcc, 0, v38
	v_cmp_ne_u64_e64 s[0:1], 0, v[12:13]
	v_add_u32_e32 v36, 64, v3
	s_and_b64 s[4:5], s[0:1], vcc
	; wave barrier
	s_and_saveexec_b64 s[0:1], s[4:5]
	s_cbranch_execz .LBB14_99
; %bb.98:
	v_bcnt_u32_b32 v12, v12, 0
	v_bcnt_u32_b32 v12, v13, v12
	s_waitcnt lgkmcnt(0)
	v_add_u32_e32 v12, v28, v12
	ds_write_b32 v37, v12 offset:64
.LBB14_99:
	s_or_b64 exec, exec, s[0:1]
	; wave barrier
	s_waitcnt lgkmcnt(0)
	s_barrier
	ds_read2_b32 v[16:17], v3 offset0:16 offset1:17
	ds_read2_b32 v[12:13], v36 offset0:2 offset1:3
	ds_read_b32 v39, v36 offset:16
	v_cmp_lt_u32_e64 s[8:9], 31, v4
	s_waitcnt lgkmcnt(1)
	v_add3_u32 v40, v17, v16, v12
	s_waitcnt lgkmcnt(0)
	v_add3_u32 v39, v40, v13, v39
	v_and_b32_e32 v40, 15, v4
	v_cmp_eq_u32_e32 vcc, 0, v40
	v_mov_b32_dpp v41, v39 row_shr:1 row_mask:0xf bank_mask:0xf
	v_cmp_lt_u32_e64 s[0:1], 1, v40
	v_cndmask_b32_e64 v41, v41, 0, vcc
	v_add_u32_e32 v39, v41, v39
	v_cmp_lt_u32_e64 s[6:7], 3, v40
	v_cmp_lt_u32_e64 s[4:5], 7, v40
	v_mov_b32_dpp v41, v39 row_shr:2 row_mask:0xf bank_mask:0xf
	v_cndmask_b32_e64 v41, 0, v41, s[0:1]
	v_add_u32_e32 v39, v39, v41
	s_nop 1
	v_mov_b32_dpp v41, v39 row_shr:4 row_mask:0xf bank_mask:0xf
	v_cndmask_b32_e64 v41, 0, v41, s[6:7]
	v_add_u32_e32 v39, v39, v41
	s_nop 1
	v_mov_b32_dpp v41, v39 row_shr:8 row_mask:0xf bank_mask:0xf
	v_cndmask_b32_e64 v40, 0, v41, s[4:5]
	v_add_u32_e32 v39, v39, v40
	v_bfe_i32 v41, v4, 4, 1
	s_nop 0
	v_mov_b32_dpp v40, v39 row_bcast:15 row_mask:0xf bank_mask:0xf
	v_and_b32_e32 v40, v41, v40
	v_add_u32_e32 v39, v39, v40
	v_and_b32_e32 v41, 63, v2
	s_nop 0
	v_mov_b32_dpp v40, v39 row_bcast:31 row_mask:0xf bank_mask:0xf
	v_cndmask_b32_e64 v40, 0, v40, s[8:9]
	v_add_u32_e32 v39, v39, v40
	v_lshrrev_b32_e32 v40, 6, v2
	v_cmp_eq_u32_e64 s[8:9], 63, v41
	s_and_saveexec_b64 s[12:13], s[8:9]
	s_cbranch_execz .LBB14_101
; %bb.100:
	v_lshlrev_b32_e32 v41, 2, v40
	ds_write_b32 v41, v39
.LBB14_101:
	s_or_b64 exec, exec, s[12:13]
	v_cmp_gt_u32_e64 s[8:9], 16, v2
	s_waitcnt lgkmcnt(0)
	s_barrier
	s_and_saveexec_b64 s[12:13], s[8:9]
	s_cbranch_execz .LBB14_103
; %bb.102:
	v_lshlrev_b32_e32 v41, 2, v2
	ds_read_b32 v42, v41
	s_waitcnt lgkmcnt(0)
	s_nop 0
	v_mov_b32_dpp v43, v42 row_shr:1 row_mask:0xf bank_mask:0xf
	v_cndmask_b32_e64 v43, v43, 0, vcc
	v_add_u32_e32 v42, v43, v42
	s_nop 1
	v_mov_b32_dpp v43, v42 row_shr:2 row_mask:0xf bank_mask:0xf
	v_cndmask_b32_e64 v43, 0, v43, s[0:1]
	v_add_u32_e32 v42, v42, v43
	s_nop 1
	v_mov_b32_dpp v43, v42 row_shr:4 row_mask:0xf bank_mask:0xf
	v_cndmask_b32_e64 v43, 0, v43, s[6:7]
	;; [unrolled: 4-line block ×3, first 2 shown]
	v_add_u32_e32 v42, v42, v43
	ds_write_b32 v41, v42
.LBB14_103:
	s_or_b64 exec, exec, s[12:13]
	v_cmp_lt_u32_e32 vcc, 63, v2
	v_mov_b32_e32 v41, 0
	s_waitcnt lgkmcnt(0)
	s_barrier
	s_and_saveexec_b64 s[0:1], vcc
	s_cbranch_execz .LBB14_105
; %bb.104:
	v_lshl_add_u32 v40, v40, 2, -4
	ds_read_b32 v41, v40
.LBB14_105:
	s_or_b64 exec, exec, s[0:1]
	v_add_u32_e32 v40, -1, v4
	v_and_b32_e32 v42, 64, v4
	v_cmp_lt_i32_e32 vcc, v40, v42
	s_waitcnt lgkmcnt(0)
	v_add_u32_e32 v39, v41, v39
	s_movk_i32 s4, 0xff
	v_cndmask_b32_e32 v40, v40, v4, vcc
	v_lshlrev_b32_e32 v40, 2, v40
	ds_bpermute_b32 v39, v40, v39
	v_cmp_eq_u32_e32 vcc, 0, v4
	s_movk_i32 s5, 0x100
	v_cmp_lt_u32_e64 s[0:1], s4, v2
	s_waitcnt lgkmcnt(0)
	v_cndmask_b32_e32 v39, v39, v41, vcc
	v_cmp_ne_u32_e32 vcc, 0, v2
	s_nop 1
	v_cndmask_b32_e32 v39, 0, v39, vcc
	v_add_u32_e32 v16, v39, v16
	v_add_u32_e32 v17, v16, v17
	;; [unrolled: 1-line block ×4, first 2 shown]
	ds_write2_b32 v3, v39, v16 offset0:16 offset1:17
	ds_write2_b32 v36, v17, v12 offset0:2 offset1:3
	ds_write_b32 v36, v13 offset:16
	s_waitcnt lgkmcnt(0)
	s_barrier
	ds_read_b32 v3, v7 offset:64
	ds_read_b32 v24, v24 offset:64
	;; [unrolled: 1-line block ×6, first 2 shown]
	v_cmp_gt_u32_e32 vcc, s5, v2
	v_mov_b64_e32 v[12:13], 0
                                        ; implicit-def: $vgpr16
	s_and_saveexec_b64 s[6:7], vcc
	s_cbranch_execz .LBB14_109
; %bb.106:
	v_mul_u32_u24_e32 v7, 17, v2
	v_lshlrev_b32_e32 v13, 2, v7
	ds_read_b32 v12, v13 offset:64
	v_cmp_ne_u32_e64 s[4:5], s4, v2
	v_mov_b32_e32 v7, 0x1800
	s_and_saveexec_b64 s[8:9], s[4:5]
	s_cbranch_execz .LBB14_108
; %bb.107:
	ds_read_b32 v7, v13 offset:132
.LBB14_108:
	s_or_b64 exec, exec, s[8:9]
	s_waitcnt lgkmcnt(0)
	v_sub_u32_e32 v16, v7, v12
	v_mov_b32_e32 v13, 0
.LBB14_109:
	s_or_b64 exec, exec, s[6:7]
	s_waitcnt lgkmcnt(5)
	v_add_u32_e32 v17, v3, v22
	s_waitcnt lgkmcnt(4)
	v_add3_u32 v22, v25, v23, v24
	v_lshlrev_b32_e32 v3, 3, v17
	s_waitcnt lgkmcnt(3)
	v_add3_u32 v23, v29, v26, v27
	s_waitcnt lgkmcnt(0)
	s_barrier
	ds_write_b64 v3, v[0:1] offset:2048
	v_lshlrev_b32_e32 v0, 3, v22
	v_add3_u32 v24, v32, v30, v31
	ds_write_b64 v0, v[8:9] offset:2048
	v_lshlrev_b32_e32 v0, 3, v23
	v_add3_u32 v25, v35, v33, v34
	;; [unrolled: 3-line block ×3, first 2 shown]
	ds_write_b64 v0, v[14:15] offset:2048
	v_lshlrev_b32_e32 v0, 3, v25
	v_mov_b32_e32 v7, v5
	ds_write_b64 v0, v[18:19] offset:2048
	v_lshlrev_b32_e32 v0, 3, v26
	ds_write_b64 v0, v[20:21] offset:2048
	s_waitcnt lgkmcnt(0)
	s_barrier
	s_and_saveexec_b64 s[4:5], s[0:1]
	s_xor_b64 s[0:1], exec, s[4:5]
; %bb.110:
	v_mov_b32_e32 v3, 0
; %bb.111:
	s_andn2_saveexec_b64 s[4:5], s[0:1]
	s_cbranch_execz .LBB14_121
; %bb.112:
	v_lshl_or_b32 v8, s2, 8, v2
	v_mov_b32_e32 v9, 0
	v_lshl_add_u64 v[0:1], v[8:9], 2, s[48:49]
	v_or_b32_e32 v3, 2.0, v16
	s_mov_b64 s[6:7], 0
	s_brev_b32 s15, 1
	s_mov_b32 s16, s2
	v_mov_b32_e32 v14, 0
	global_store_dword v[0:1], v3, off sc1
                                        ; implicit-def: $sgpr0_sgpr1
	s_branch .LBB14_115
.LBB14_113:                             ;   in Loop: Header=BB14_115 Depth=1
	s_or_b64 exec, exec, s[12:13]
.LBB14_114:                             ;   in Loop: Header=BB14_115 Depth=1
	s_or_b64 exec, exec, s[8:9]
	v_and_b32_e32 v8, 0x3fffffff, v8
	v_add_u32_e32 v14, v8, v14
	v_cmp_eq_u32_e64 s[0:1], s15, v3
	s_and_b64 s[8:9], exec, s[0:1]
	s_or_b64 s[6:7], s[8:9], s[6:7]
	s_andn2_b64 exec, exec, s[6:7]
	s_cbranch_execz .LBB14_120
.LBB14_115:                             ; =>This Loop Header: Depth=1
                                        ;     Child Loop BB14_118 Depth 2
	s_or_b64 s[0:1], s[0:1], exec
	s_cmp_eq_u32 s16, 0
	s_cbranch_scc1 .LBB14_119
; %bb.116:                              ;   in Loop: Header=BB14_115 Depth=1
	s_add_i32 s16, s16, -1
	v_lshl_or_b32 v8, s16, 8, v2
	v_lshl_add_u64 v[10:11], v[8:9], 2, s[48:49]
	global_load_dword v8, v[10:11], off sc1
	s_waitcnt vmcnt(0)
	v_and_b32_e32 v3, -2.0, v8
	v_cmp_eq_u32_e64 s[0:1], 0, v3
	s_and_saveexec_b64 s[8:9], s[0:1]
	s_cbranch_execz .LBB14_114
; %bb.117:                              ;   in Loop: Header=BB14_115 Depth=1
	s_mov_b64 s[12:13], 0
.LBB14_118:                             ;   Parent Loop BB14_115 Depth=1
                                        ; =>  This Inner Loop Header: Depth=2
	global_load_dword v8, v[10:11], off sc1
	s_waitcnt vmcnt(0)
	v_and_b32_e32 v3, -2.0, v8
	v_cmp_ne_u32_e64 s[0:1], 0, v3
	s_or_b64 s[12:13], s[0:1], s[12:13]
	s_andn2_b64 exec, exec, s[12:13]
	s_cbranch_execnz .LBB14_118
	s_branch .LBB14_113
.LBB14_119:                             ;   in Loop: Header=BB14_115 Depth=1
                                        ; implicit-def: $sgpr16
	s_and_b64 s[8:9], exec, s[0:1]
	s_or_b64 s[6:7], s[8:9], s[6:7]
	s_andn2_b64 exec, exec, s[6:7]
	s_cbranch_execnz .LBB14_115
.LBB14_120:
	s_or_b64 exec, exec, s[6:7]
	v_add_u32_e32 v3, v14, v16
	v_or_b32_e32 v3, 0x80000000, v3
	global_store_dword v[0:1], v3, off sc1
	v_lshlrev_b32_e32 v10, 3, v2
	global_load_dwordx2 v[0:1], v10, s[28:29]
	v_sub_co_u32_e64 v8, s[0:1], v14, v12
	v_mov_b32_e32 v3, 0
	s_nop 0
	v_subb_co_u32_e64 v9, s[0:1], 0, v13, s[0:1]
	s_waitcnt vmcnt(0)
	v_lshl_add_u64 v[0:1], v[8:9], 0, v[0:1]
	ds_write_b64 v10, v[0:1]
.LBB14_121:
	s_or_b64 exec, exec, s[4:5]
	v_lshlrev_b32_e32 v27, 3, v2
	s_waitcnt lgkmcnt(0)
	s_barrier
	ds_read2st64_b64 v[8:11], v27 offset0:20 offset1:36
	v_lshlrev_b32_e32 v0, 3, v2
	ds_read2st64_b64 v[18:21], v27 offset0:52 offset1:68
	ds_read_b64 v[0:1], v0 offset:2048
	s_add_u32 s0, s40, s34
	s_addc_u32 s1, s41, 0
	s_waitcnt lgkmcnt(2)
	v_lshrrev_b64 v[14:15], s44, v[10:11]
	v_and_b32_e32 v14, s14, v14
	v_lshlrev_b32_e32 v40, 3, v14
	s_waitcnt lgkmcnt(1)
	v_lshrrev_b64 v[14:15], s44, v[20:21]
	v_and_b32_e32 v14, s14, v14
	v_lshlrev_b32_e32 v41, 3, v14
	s_waitcnt lgkmcnt(0)
	v_lshrrev_b64 v[32:33], s44, v[0:1]
	ds_read_b64 v[14:15], v41
	ds_read_b64 v[28:29], v40
	ds_read_b64 v[30:31], v27 offset:43008
	v_and_b32_e32 v32, s14, v32
	v_lshlrev_b32_e32 v42, 3, v32
	v_lshrrev_b64 v[32:33], s44, v[8:9]
	v_and_b32_e32 v32, s14, v32
	v_lshlrev_b32_e32 v43, 3, v32
	v_lshrrev_b64 v[32:33], s44, v[18:19]
	v_and_b32_e32 v32, s14, v32
	v_lshlrev_b32_e32 v44, 3, v32
	s_waitcnt lgkmcnt(0)
	v_lshrrev_b64 v[32:33], s44, v[30:31]
	v_and_b32_e32 v34, s14, v32
	ds_read_b64 v[32:33], v42
	v_lshlrev_b32_e32 v45, 3, v34
	ds_read_b64 v[34:35], v43
	ds_read_b64 v[36:37], v44
	ds_read_b64 v[38:39], v45
	v_xor_b32_e32 v1, 0x7fffffff, v1
	v_xor_b32_e32 v0, -1, v0
	s_waitcnt lgkmcnt(3)
	v_lshl_add_u64 v[32:33], v[32:33], 3, s[38:39]
	v_lshl_add_u64 v[32:33], v[2:3], 3, v[32:33]
	global_store_dwordx2 v[32:33], v[0:1], off
	s_waitcnt lgkmcnt(2)
	v_lshl_add_u64 v[32:33], v[34:35], 3, s[38:39]
	v_or_b32_e32 v0, 0x2000, v27
	v_mov_b32_e32 v1, 0
	v_xor_b32_e32 v9, 0x7fffffff, v9
	v_xor_b32_e32 v8, -1, v8
	v_lshl_add_u64 v[32:33], v[32:33], 0, v[0:1]
	global_store_dwordx2 v[32:33], v[8:9], off
	v_xor_b32_e32 v9, 0x7fffffff, v11
	v_xor_b32_e32 v8, -1, v10
	v_lshl_add_u64 v[10:11], v[28:29], 3, s[38:39]
	v_or_b32_e32 v0, 0x4000, v27
	v_lshl_add_u64 v[10:11], v[10:11], 0, v[0:1]
	global_store_dwordx2 v[10:11], v[8:9], off
	s_waitcnt lgkmcnt(1)
	v_lshl_add_u64 v[10:11], v[36:37], 3, s[38:39]
	v_or_b32_e32 v0, 0x6000, v27
	v_xor_b32_e32 v9, 0x7fffffff, v19
	v_xor_b32_e32 v8, -1, v18
	v_lshl_add_u64 v[10:11], v[10:11], 0, v[0:1]
	v_or_b32_e32 v0, 0x1000, v2
	global_store_dwordx2 v[10:11], v[8:9], off
	v_lshl_add_u64 v[10:11], v[14:15], 3, s[38:39]
	v_lshlrev_b32_e32 v14, 3, v0
	v_mov_b32_e32 v15, v1
	v_xor_b32_e32 v9, 0x7fffffff, v21
	v_xor_b32_e32 v8, -1, v20
	v_lshl_add_u64 v[10:11], v[10:11], 0, v[14:15]
	global_store_dwordx2 v[10:11], v[8:9], off
	v_or_b32_e32 v8, 0x1400, v2
	s_waitcnt lgkmcnt(0)
	v_lshl_add_u64 v[14:15], v[38:39], 3, s[38:39]
	v_lshlrev_b32_e32 v18, 3, v8
	v_mov_b32_e32 v19, v1
	v_xor_b32_e32 v11, 0x7fffffff, v31
	v_xor_b32_e32 v10, -1, v30
	v_lshl_add_u64 v[14:15], v[14:15], 0, v[18:19]
	v_lshl_add_u64 v[4:5], s[0:1], 0, v[4:5]
	global_store_dwordx2 v[14:15], v[10:11], off
	v_lshl_add_u64 v[4:5], v[4:5], 0, v[6:7]
	global_load_ubyte v6, v[4:5], off
	global_load_ubyte v7, v[4:5], off offset:64
	global_load_ubyte v10, v[4:5], off offset:128
	;; [unrolled: 1-line block ×5, first 2 shown]
	s_barrier
	s_add_i32 s3, s3, -1
	s_cmp_eq_u32 s2, s3
	v_mov_b32_e32 v9, v1
	s_cselect_b64 s[0:1], -1, 0
	s_and_b64 s[2:3], vcc, s[0:1]
	s_waitcnt vmcnt(5)
	ds_write_b8 v17, v6 offset:2048
	s_waitcnt vmcnt(4)
	ds_write_b8 v22, v7 offset:2048
	;; [unrolled: 2-line block ×6, first 2 shown]
	s_waitcnt lgkmcnt(0)
	s_barrier
	ds_read_u8 v17, v2 offset:3072
	ds_read_b64 v[4:5], v42
	ds_read_b64 v[6:7], v43
	;; [unrolled: 1-line block ×5, first 2 shown]
	ds_read_u8 v22, v2 offset:2048
	ds_read_b64 v[20:21], v45
	s_waitcnt lgkmcnt(6)
	v_lshl_add_u64 v[4:5], s[42:43], 0, v[4:5]
	v_lshl_add_u64 v[4:5], v[4:5], 0, v[2:3]
	s_waitcnt lgkmcnt(5)
	v_lshl_add_u64 v[6:7], s[42:43], 0, v[6:7]
	s_waitcnt lgkmcnt(1)
	global_store_byte v[4:5], v22, off
	ds_read_u8 v4, v2 offset:4096
	v_lshl_add_u64 v[6:7], v[6:7], 0, v[2:3]
	v_lshl_add_u64 v[10:11], s[42:43], 0, v[10:11]
	global_store_byte v[6:7], v17, off offset:1024
	v_lshl_add_u64 v[10:11], v[10:11], 0, v[2:3]
	ds_read_u8 v6, v2 offset:5120
	ds_read_u8 v7, v2 offset:6144
	;; [unrolled: 1-line block ×3, first 2 shown]
	s_waitcnt lgkmcnt(3)
	global_store_byte v[10:11], v4, off offset:2048
	v_lshl_add_u64 v[4:5], s[42:43], 0, v[14:15]
	v_lshl_add_u64 v[4:5], v[4:5], 0, v[2:3]
	s_waitcnt lgkmcnt(2)
	global_store_byte v[4:5], v6, off offset:3072
	v_lshl_add_u64 v[4:5], s[42:43], 0, v[18:19]
	v_lshl_add_u64 v[4:5], v[4:5], 0, v[0:1]
	s_waitcnt lgkmcnt(1)
	global_store_byte v[4:5], v7, off
	v_lshl_add_u64 v[4:5], s[42:43], 0, v[20:21]
	v_lshl_add_u64 v[4:5], v[4:5], 0, v[8:9]
	s_waitcnt lgkmcnt(0)
	global_store_byte v[4:5], v17, off
                                        ; implicit-def: $vgpr4_vgpr5
	s_and_saveexec_b64 s[0:1], s[2:3]
; %bb.122:
	v_mov_b32_e32 v17, v1
	v_lshl_add_u64 v[4:5], v[12:13], 0, v[16:17]
	s_or_b64 s[10:11], s[10:11], exec
; %bb.123:
	s_or_b64 exec, exec, s[0:1]
.LBB14_124:
	s_and_saveexec_b64 s[0:1], s[10:11]
	s_cbranch_execnz .LBB14_126
; %bb.125:
	s_endpgm
.LBB14_126:
	v_lshlrev_b32_e32 v0, 3, v2
	ds_read_b64 v[0:1], v0
	v_mov_b32_e32 v6, s30
	v_mov_b32_e32 v7, s31
	v_lshl_add_u64 v[2:3], v[2:3], 3, v[6:7]
	s_waitcnt lgkmcnt(0)
	v_lshl_add_u64 v[0:1], v[0:1], 0, v[4:5]
	global_store_dwordx2 v[2:3], v[0:1], off
	s_endpgm
.LBB14_127:
	global_load_ubyte v6, v[4:5], off
	s_or_b64 exec, exec, s[46:47]
                                        ; implicit-def: $vgpr7
	s_and_saveexec_b64 s[46:47], s[26:27]
	s_cbranch_execz .LBB14_59
.LBB14_128:
	global_load_ubyte v7, v[4:5], off offset:64
	s_or_b64 exec, exec, s[46:47]
                                        ; implicit-def: $vgpr9
	s_and_saveexec_b64 s[26:27], s[4:5]
	s_cbranch_execz .LBB14_60
.LBB14_129:
	global_load_ubyte v9, v[4:5], off offset:128
	s_or_b64 exec, exec, s[26:27]
                                        ; implicit-def: $vgpr11
	s_and_saveexec_b64 s[4:5], s[6:7]
	s_cbranch_execz .LBB14_61
.LBB14_130:
	global_load_ubyte v11, v[4:5], off offset:192
	s_or_b64 exec, exec, s[4:5]
                                        ; implicit-def: $vgpr19
	s_and_saveexec_b64 s[4:5], s[8:9]
	s_cbranch_execz .LBB14_62
.LBB14_131:
	global_load_ubyte v19, v[4:5], off offset:256
	s_or_b64 exec, exec, s[4:5]
                                        ; implicit-def: $vgpr21
	s_and_saveexec_b64 s[4:5], s[10:11]
	s_cbranch_execnz .LBB14_63
	s_branch .LBB14_64
.LBB14_132:
	v_lshlrev_b32_e32 v3, 3, v22
	ds_read_b64 v[6:7], v3
	ds_read_u8 v8, v2 offset:2048
	v_mov_b32_e32 v3, 0
	s_waitcnt lgkmcnt(1)
	v_lshl_add_u64 v[6:7], s[42:43], 0, v[6:7]
	v_lshl_add_u64 v[6:7], v[6:7], 0, v[2:3]
	s_waitcnt lgkmcnt(0)
	global_store_byte v[6:7], v8, off
	s_or_b64 exec, exec, s[4:5]
	s_and_saveexec_b64 s[4:5], s[16:17]
	s_cbranch_execz .LBB14_78
.LBB14_133:
	v_lshlrev_b32_e32 v3, 3, v17
	ds_read_b64 v[6:7], v3
	ds_read_u8 v8, v2 offset:3072
	v_mov_b32_e32 v3, 0
	s_waitcnt lgkmcnt(1)
	v_lshl_add_u64 v[6:7], s[42:43], 0, v[6:7]
	v_lshl_add_u64 v[6:7], v[6:7], 0, v[2:3]
	s_waitcnt lgkmcnt(0)
	global_store_byte v[6:7], v8, off offset:1024
	s_or_b64 exec, exec, s[4:5]
	s_and_saveexec_b64 s[4:5], s[18:19]
	s_cbranch_execz .LBB14_79
.LBB14_134:
	v_lshlrev_b32_e32 v3, 3, v20
	ds_read_b64 v[6:7], v3
	ds_read_u8 v8, v2 offset:4096
	v_mov_b32_e32 v3, 0
	s_waitcnt lgkmcnt(1)
	v_lshl_add_u64 v[6:7], s[42:43], 0, v[6:7]
	v_lshl_add_u64 v[6:7], v[6:7], 0, v[2:3]
	s_waitcnt lgkmcnt(0)
	global_store_byte v[6:7], v8, off offset:2048
	s_or_b64 exec, exec, s[4:5]
	s_and_saveexec_b64 s[4:5], s[20:21]
	s_cbranch_execz .LBB14_80
.LBB14_135:
	v_lshlrev_b32_e32 v3, 3, v5
	ds_read_b64 v[6:7], v3
	ds_read_u8 v5, v2 offset:5120
	v_mov_b32_e32 v3, 0
	s_waitcnt lgkmcnt(1)
	v_lshl_add_u64 v[6:7], s[42:43], 0, v[6:7]
	v_lshl_add_u64 v[6:7], v[6:7], 0, v[2:3]
	s_waitcnt lgkmcnt(0)
	global_store_byte v[6:7], v5, off offset:3072
	s_or_b64 exec, exec, s[4:5]
	s_and_saveexec_b64 s[4:5], s[22:23]
	s_cbranch_execz .LBB14_81
.LBB14_136:
	v_lshlrev_b32_e32 v3, 3, v18
	ds_read_b64 v[6:7], v3
	ds_read_u8 v3, v2 offset:6144
	v_mov_b32_e32 v11, 0
	s_waitcnt lgkmcnt(1)
	v_lshl_add_u64 v[6:7], s[42:43], 0, v[6:7]
	v_lshl_add_u64 v[6:7], v[6:7], 0, v[10:11]
	s_waitcnt lgkmcnt(0)
	global_store_byte v[6:7], v3, off
	s_or_b64 exec, exec, s[4:5]
	s_and_saveexec_b64 s[4:5], s[24:25]
	s_cbranch_execnz .LBB14_82
	s_branch .LBB14_83
	.section	.rodata,"a",@progbits
	.p2align	6, 0x0
	.amdhsa_kernel _ZN7rocprim17ROCPRIM_304000_NS6detail25onesweep_iteration_kernelINS1_34wrapped_radix_sort_onesweep_configINS0_14default_configElN2at4cuda3cub6detail10OpaqueTypeILi1EEEEELb1EPKlPlPKSA_PSA_mNS0_19identity_decomposerEEEvT1_T2_T3_T4_jPT5_SO_PNS1_23onesweep_lookback_stateET6_jjj
		.amdhsa_group_segment_fixed_size 51200
		.amdhsa_private_segment_fixed_size 0
		.amdhsa_kernarg_size 336
		.amdhsa_user_sgpr_count 2
		.amdhsa_user_sgpr_dispatch_ptr 0
		.amdhsa_user_sgpr_queue_ptr 0
		.amdhsa_user_sgpr_kernarg_segment_ptr 1
		.amdhsa_user_sgpr_dispatch_id 0
		.amdhsa_user_sgpr_kernarg_preload_length 0
		.amdhsa_user_sgpr_kernarg_preload_offset 0
		.amdhsa_user_sgpr_private_segment_size 0
		.amdhsa_uses_dynamic_stack 0
		.amdhsa_enable_private_segment 0
		.amdhsa_system_sgpr_workgroup_id_x 1
		.amdhsa_system_sgpr_workgroup_id_y 0
		.amdhsa_system_sgpr_workgroup_id_z 0
		.amdhsa_system_sgpr_workgroup_info 0
		.amdhsa_system_vgpr_workitem_id 2
		.amdhsa_next_free_vgpr 46
		.amdhsa_next_free_sgpr 50
		.amdhsa_accum_offset 48
		.amdhsa_reserve_vcc 1
		.amdhsa_float_round_mode_32 0
		.amdhsa_float_round_mode_16_64 0
		.amdhsa_float_denorm_mode_32 3
		.amdhsa_float_denorm_mode_16_64 3
		.amdhsa_dx10_clamp 1
		.amdhsa_ieee_mode 1
		.amdhsa_fp16_overflow 0
		.amdhsa_tg_split 0
		.amdhsa_exception_fp_ieee_invalid_op 0
		.amdhsa_exception_fp_denorm_src 0
		.amdhsa_exception_fp_ieee_div_zero 0
		.amdhsa_exception_fp_ieee_overflow 0
		.amdhsa_exception_fp_ieee_underflow 0
		.amdhsa_exception_fp_ieee_inexact 0
		.amdhsa_exception_int_div_zero 0
	.end_amdhsa_kernel
	.section	.text._ZN7rocprim17ROCPRIM_304000_NS6detail25onesweep_iteration_kernelINS1_34wrapped_radix_sort_onesweep_configINS0_14default_configElN2at4cuda3cub6detail10OpaqueTypeILi1EEEEELb1EPKlPlPKSA_PSA_mNS0_19identity_decomposerEEEvT1_T2_T3_T4_jPT5_SO_PNS1_23onesweep_lookback_stateET6_jjj,"axG",@progbits,_ZN7rocprim17ROCPRIM_304000_NS6detail25onesweep_iteration_kernelINS1_34wrapped_radix_sort_onesweep_configINS0_14default_configElN2at4cuda3cub6detail10OpaqueTypeILi1EEEEELb1EPKlPlPKSA_PSA_mNS0_19identity_decomposerEEEvT1_T2_T3_T4_jPT5_SO_PNS1_23onesweep_lookback_stateET6_jjj,comdat
.Lfunc_end14:
	.size	_ZN7rocprim17ROCPRIM_304000_NS6detail25onesweep_iteration_kernelINS1_34wrapped_radix_sort_onesweep_configINS0_14default_configElN2at4cuda3cub6detail10OpaqueTypeILi1EEEEELb1EPKlPlPKSA_PSA_mNS0_19identity_decomposerEEEvT1_T2_T3_T4_jPT5_SO_PNS1_23onesweep_lookback_stateET6_jjj, .Lfunc_end14-_ZN7rocprim17ROCPRIM_304000_NS6detail25onesweep_iteration_kernelINS1_34wrapped_radix_sort_onesweep_configINS0_14default_configElN2at4cuda3cub6detail10OpaqueTypeILi1EEEEELb1EPKlPlPKSA_PSA_mNS0_19identity_decomposerEEEvT1_T2_T3_T4_jPT5_SO_PNS1_23onesweep_lookback_stateET6_jjj
                                        ; -- End function
	.section	.AMDGPU.csdata,"",@progbits
; Kernel info:
; codeLenInByte = 11224
; NumSgprs: 56
; NumVgprs: 46
; NumAgprs: 0
; TotalNumVgprs: 46
; ScratchSize: 0
; MemoryBound: 0
; FloatMode: 240
; IeeeMode: 1
; LDSByteSize: 51200 bytes/workgroup (compile time only)
; SGPRBlocks: 6
; VGPRBlocks: 5
; NumSGPRsForWavesPerEU: 56
; NumVGPRsForWavesPerEU: 46
; AccumOffset: 48
; Occupancy: 4
; WaveLimiterHint : 1
; COMPUTE_PGM_RSRC2:SCRATCH_EN: 0
; COMPUTE_PGM_RSRC2:USER_SGPR: 2
; COMPUTE_PGM_RSRC2:TRAP_HANDLER: 0
; COMPUTE_PGM_RSRC2:TGID_X_EN: 1
; COMPUTE_PGM_RSRC2:TGID_Y_EN: 0
; COMPUTE_PGM_RSRC2:TGID_Z_EN: 0
; COMPUTE_PGM_RSRC2:TIDIG_COMP_CNT: 2
; COMPUTE_PGM_RSRC3_GFX90A:ACCUM_OFFSET: 11
; COMPUTE_PGM_RSRC3_GFX90A:TG_SPLIT: 0
	.section	.text._ZN7rocprim17ROCPRIM_304000_NS6detail25onesweep_iteration_kernelINS1_34wrapped_radix_sort_onesweep_configINS0_14default_configElN2at4cuda3cub6detail10OpaqueTypeILi1EEEEELb1EPlSC_PSA_SD_mNS0_19identity_decomposerEEEvT1_T2_T3_T4_jPT5_SK_PNS1_23onesweep_lookback_stateET6_jjj,"axG",@progbits,_ZN7rocprim17ROCPRIM_304000_NS6detail25onesweep_iteration_kernelINS1_34wrapped_radix_sort_onesweep_configINS0_14default_configElN2at4cuda3cub6detail10OpaqueTypeILi1EEEEELb1EPlSC_PSA_SD_mNS0_19identity_decomposerEEEvT1_T2_T3_T4_jPT5_SK_PNS1_23onesweep_lookback_stateET6_jjj,comdat
	.protected	_ZN7rocprim17ROCPRIM_304000_NS6detail25onesweep_iteration_kernelINS1_34wrapped_radix_sort_onesweep_configINS0_14default_configElN2at4cuda3cub6detail10OpaqueTypeILi1EEEEELb1EPlSC_PSA_SD_mNS0_19identity_decomposerEEEvT1_T2_T3_T4_jPT5_SK_PNS1_23onesweep_lookback_stateET6_jjj ; -- Begin function _ZN7rocprim17ROCPRIM_304000_NS6detail25onesweep_iteration_kernelINS1_34wrapped_radix_sort_onesweep_configINS0_14default_configElN2at4cuda3cub6detail10OpaqueTypeILi1EEEEELb1EPlSC_PSA_SD_mNS0_19identity_decomposerEEEvT1_T2_T3_T4_jPT5_SK_PNS1_23onesweep_lookback_stateET6_jjj
	.globl	_ZN7rocprim17ROCPRIM_304000_NS6detail25onesweep_iteration_kernelINS1_34wrapped_radix_sort_onesweep_configINS0_14default_configElN2at4cuda3cub6detail10OpaqueTypeILi1EEEEELb1EPlSC_PSA_SD_mNS0_19identity_decomposerEEEvT1_T2_T3_T4_jPT5_SK_PNS1_23onesweep_lookback_stateET6_jjj
	.p2align	8
	.type	_ZN7rocprim17ROCPRIM_304000_NS6detail25onesweep_iteration_kernelINS1_34wrapped_radix_sort_onesweep_configINS0_14default_configElN2at4cuda3cub6detail10OpaqueTypeILi1EEEEELb1EPlSC_PSA_SD_mNS0_19identity_decomposerEEEvT1_T2_T3_T4_jPT5_SK_PNS1_23onesweep_lookback_stateET6_jjj,@function
_ZN7rocprim17ROCPRIM_304000_NS6detail25onesweep_iteration_kernelINS1_34wrapped_radix_sort_onesweep_configINS0_14default_configElN2at4cuda3cub6detail10OpaqueTypeILi1EEEEELb1EPlSC_PSA_SD_mNS0_19identity_decomposerEEEvT1_T2_T3_T4_jPT5_SK_PNS1_23onesweep_lookback_stateET6_jjj: ; @_ZN7rocprim17ROCPRIM_304000_NS6detail25onesweep_iteration_kernelINS1_34wrapped_radix_sort_onesweep_configINS0_14default_configElN2at4cuda3cub6detail10OpaqueTypeILi1EEEEELb1EPlSC_PSA_SD_mNS0_19identity_decomposerEEEvT1_T2_T3_T4_jPT5_SK_PNS1_23onesweep_lookback_stateET6_jjj
; %bb.0:
	s_load_dwordx4 s[44:47], s[0:1], 0x44
	s_load_dwordx8 s[36:43], s[0:1], 0x0
	s_load_dwordx4 s[28:31], s[0:1], 0x28
	s_load_dwordx2 s[48:49], s[0:1], 0x38
	s_mul_i32 s34, s2, 0x1800
	s_waitcnt lgkmcnt(0)
	s_cmp_ge_u32 s2, s46
	v_mbcnt_lo_u32_b32 v1, -1, 0
	s_cbranch_scc0 .LBB15_86
; %bb.1:
	s_load_dword s3, s[0:1], 0x20
	s_mul_i32 s33, s46, 0xffffe800
	s_mov_b32 s35, 0
	v_and_b32_e32 v2, 0x3ff, v0
	s_lshl_b64 s[4:5], s[34:35], 3
	s_waitcnt lgkmcnt(0)
	s_add_i32 s33, s33, s3
	s_add_u32 s4, s36, s4
	v_mov_b32_e32 v5, 0
	v_mbcnt_hi_u32_b32 v4, -1, v1
	v_and_b32_e32 v3, 0x3c0, v2
	s_addc_u32 s5, s37, s5
	v_mul_u32_u24_e32 v6, 6, v3
	v_lshlrev_b32_e32 v8, 3, v4
	v_mov_b32_e32 v9, v5
	v_lshl_add_u64 v[8:9], s[4:5], 0, v[8:9]
	v_lshlrev_b32_e32 v10, 3, v6
	v_mov_b32_e32 v11, v5
	v_or_b32_e32 v3, v4, v6
	s_brev_b32 s5, 1
	s_mov_b32 s4, s35
	v_lshl_add_u64 v[20:21], v[8:9], 0, v[10:11]
	v_cmp_gt_u32_e32 vcc, s33, v3
	v_mov_b64_e32 v[8:9], s[4:5]
	s_and_saveexec_b64 s[6:7], vcc
	s_cbranch_execz .LBB15_3
; %bb.2:
	global_load_dwordx2 v[8:9], v[20:21], off
.LBB15_3:
	s_or_b64 exec, exec, s[6:7]
	v_add_u32_e32 v7, 64, v3
	v_cmp_gt_u32_e64 s[26:27], s33, v7
	v_mov_b64_e32 v[10:11], s[4:5]
	s_and_saveexec_b64 s[4:5], s[26:27]
	s_cbranch_execz .LBB15_5
; %bb.4:
	global_load_dwordx2 v[10:11], v[20:21], off offset:512
.LBB15_5:
	s_or_b64 exec, exec, s[4:5]
	s_mov_b32 s8, 0
	v_add_u32_e32 v7, 0x80, v3
	s_brev_b32 s9, 1
	v_cmp_gt_u32_e64 s[4:5], s33, v7
	v_mov_b64_e32 v[16:17], s[8:9]
	s_and_saveexec_b64 s[6:7], s[4:5]
	s_cbranch_execz .LBB15_7
; %bb.6:
	global_load_dwordx2 v[16:17], v[20:21], off offset:1024
.LBB15_7:
	s_or_b64 exec, exec, s[6:7]
	v_add_u32_e32 v7, 0xc0, v3
	v_cmp_gt_u32_e64 s[6:7], s33, v7
	v_mov_b64_e32 v[18:19], s[8:9]
	s_and_saveexec_b64 s[8:9], s[6:7]
	s_cbranch_execz .LBB15_9
; %bb.8:
	global_load_dwordx2 v[18:19], v[20:21], off offset:1536
.LBB15_9:
	s_or_b64 exec, exec, s[8:9]
	s_mov_b32 s12, 0
	v_add_u32_e32 v7, 0x100, v3
	s_brev_b32 s13, 1
	v_cmp_gt_u32_e64 s[8:9], s33, v7
	v_mov_b64_e32 v[14:15], s[12:13]
	s_and_saveexec_b64 s[10:11], s[8:9]
	s_cbranch_execz .LBB15_11
; %bb.10:
	global_load_dwordx2 v[14:15], v[20:21], off offset:2048
.LBB15_11:
	s_or_b64 exec, exec, s[10:11]
	v_add_u32_e32 v3, 0x140, v3
	v_cmp_gt_u32_e64 s[10:11], s33, v3
	v_mov_b64_e32 v[12:13], s[12:13]
	s_and_saveexec_b64 s[12:13], s[10:11]
	s_cbranch_execz .LBB15_13
; %bb.12:
	global_load_dwordx2 v[12:13], v[20:21], off offset:2560
.LBB15_13:
	s_or_b64 exec, exec, s[12:13]
	s_load_dword s12, s[0:1], 0x5c
	s_load_dword s3, s[0:1], 0x50
	s_add_u32 s13, s0, 0x50
	s_addc_u32 s14, s1, 0
	v_mov_b32_e32 v21, 0
	s_waitcnt lgkmcnt(0)
	s_lshr_b32 s15, s12, 16
	s_cmp_lt_u32 s2, s3
	s_cselect_b32 s12, 12, 18
	s_add_u32 s12, s13, s12
	s_addc_u32 s13, s14, 0
	global_load_ushort v7, v21, s[12:13]
	s_waitcnt vmcnt(1)
	v_xor_b32_e32 v9, 0x7fffffff, v9
	v_not_b32_e32 v8, v8
	s_lshl_b32 s12, -1, s45
	v_lshrrev_b64 v[22:23], s44, v[8:9]
	s_not_b32 s35, s12
	v_bfe_u32 v20, v0, 10, 10
	v_bfe_u32 v25, v0, 20, 10
	v_and_b32_e32 v37, s35, v22
	v_mad_u32_u24 v36, v25, s15, v20
	v_and_b32_e32 v20, 1, v37
	v_lshlrev_b32_e32 v25, 30, v37
	v_mov_b32_e32 v24, v21
	v_lshlrev_b32_e32 v27, 29, v37
	v_lshl_add_u64 v[22:23], v[20:21], 0, -1
	v_cmp_ne_u32_e64 s[12:13], 0, v20
	v_not_b32_e32 v20, v25
	v_mov_b32_e32 v26, v21
	v_mov_b32_e32 v28, v21
	v_lshlrev_b32_e32 v29, 28, v37
	v_cmp_gt_i64_e64 s[14:15], 0, v[24:25]
	v_not_b32_e32 v24, v27
	v_xor_b32_e32 v23, s13, v23
	v_ashrrev_i32_e32 v20, 31, v20
	v_mov_b32_e32 v30, v21
	v_lshlrev_b32_e32 v31, 27, v37
	v_cmp_gt_i64_e64 s[16:17], 0, v[26:27]
	v_cmp_gt_i64_e64 s[18:19], 0, v[28:29]
	v_not_b32_e32 v25, v29
	v_xor_b32_e32 v22, s12, v22
	v_ashrrev_i32_e32 v24, 31, v24
	v_and_b32_e32 v23, exec_hi, v23
	v_xor_b32_e32 v29, s15, v20
	v_lshlrev_b32_e32 v33, 26, v37
	v_cmp_gt_i64_e64 s[20:21], 0, v[30:31]
	v_not_b32_e32 v26, v31
	v_ashrrev_i32_e32 v25, 31, v25
	v_and_b32_e32 v22, exec_lo, v22
	v_xor_b32_e32 v20, s14, v20
	v_xor_b32_e32 v30, s17, v24
	v_and_b32_e32 v23, v23, v29
	v_mov_b32_e32 v32, v21
	v_lshlrev_b32_e32 v35, 25, v37
	v_not_b32_e32 v27, v33
	v_ashrrev_i32_e32 v26, 31, v26
	v_xor_b32_e32 v31, s19, v25
	v_and_b32_e32 v20, v22, v20
	v_and_b32_e32 v22, v23, v30
	v_mov_b32_e32 v34, v21
	v_cmp_gt_i64_e64 s[22:23], 0, v[32:33]
	v_not_b32_e32 v28, v35
	v_ashrrev_i32_e32 v27, 31, v27
	v_xor_b32_e32 v32, s21, v26
	v_and_b32_e32 v22, v22, v31
	v_mul_u32_u24_e32 v3, 5, v2
	v_cmp_gt_i64_e64 s[24:25], 0, v[34:35]
	v_ashrrev_i32_e32 v28, 31, v28
	v_xor_b32_e32 v33, s23, v27
	v_and_b32_e32 v22, v22, v32
	v_lshlrev_b32_e32 v3, 2, v3
	v_xor_b32_e32 v24, s16, v24
	v_xor_b32_e32 v34, s25, v28
	v_and_b32_e32 v22, v22, v33
	v_xor_b32_e32 v25, s18, v25
	v_and_b32_e32 v20, v20, v24
	v_and_b32_e32 v24, v22, v34
	v_xor_b32_e32 v26, s20, v26
	v_and_b32_e32 v20, v20, v25
	v_xor_b32_e32 v27, s22, v27
	;; [unrolled: 2-line block ×3, first 2 shown]
	v_and_b32_e32 v20, v20, v27
	v_and_b32_e32 v20, v20, v28
	v_lshl_add_u32 v38, v37, 4, v37
	ds_write2_b32 v3, v21, v21 offset0:16 offset1:17
	ds_write2_b32 v3, v21, v21 offset0:18 offset1:19
	ds_write_b32 v3, v21 offset:80
	s_waitcnt lgkmcnt(0)
	s_barrier
	s_waitcnt lgkmcnt(0)
	; wave barrier
	s_waitcnt vmcnt(0)
	v_mad_u64_u32 v[22:23], s[12:13], v36, v7, v[2:3]
	v_lshrrev_b32_e32 v31, 6, v22
	v_lshlrev_b32_e32 v23, 24, v37
	v_mov_b32_e32 v22, v21
	v_cmp_gt_i64_e64 s[12:13], 0, v[22:23]
	v_not_b32_e32 v22, v23
	v_ashrrev_i32_e32 v22, 31, v22
	v_xor_b32_e32 v23, s13, v22
	v_xor_b32_e32 v22, s12, v22
	v_and_b32_e32 v22, v20, v22
	v_and_b32_e32 v23, v24, v23
	v_mbcnt_lo_u32_b32 v20, v22, 0
	v_mbcnt_hi_u32_b32 v24, v23, v20
	v_cmp_eq_u32_e64 s[12:13], 0, v24
	v_cmp_ne_u64_e64 s[14:15], 0, v[22:23]
	v_add_lshl_u32 v7, v31, v38, 2
	s_and_b64 s[14:15], s[14:15], s[12:13]
	s_and_saveexec_b64 s[12:13], s[14:15]
	s_cbranch_execz .LBB15_15
; %bb.14:
	v_bcnt_u32_b32 v20, v22, 0
	v_bcnt_u32_b32 v20, v23, v20
	ds_write_b32 v7, v20 offset:64
.LBB15_15:
	s_or_b64 exec, exec, s[12:13]
	v_xor_b32_e32 v11, 0x7fffffff, v11
	v_not_b32_e32 v10, v10
	v_lshrrev_b64 v[22:23], s44, v[10:11]
	v_and_b32_e32 v27, s35, v22
	v_lshl_add_u32 v20, v27, 4, v27
	v_add_lshl_u32 v26, v31, v20, 2
	v_and_b32_e32 v20, 1, v27
	v_lshl_add_u64 v[22:23], v[20:21], 0, -1
	v_cmp_ne_u32_e64 s[12:13], 0, v20
	; wave barrier
	s_nop 1
	v_xor_b32_e32 v22, s12, v22
	v_xor_b32_e32 v20, s13, v23
	v_and_b32_e32 v28, exec_lo, v22
	v_lshlrev_b32_e32 v23, 30, v27
	v_mov_b32_e32 v22, v21
	v_cmp_gt_i64_e64 s[12:13], 0, v[22:23]
	v_not_b32_e32 v22, v23
	v_ashrrev_i32_e32 v22, 31, v22
	v_and_b32_e32 v20, exec_hi, v20
	v_xor_b32_e32 v23, s13, v22
	v_xor_b32_e32 v22, s12, v22
	v_and_b32_e32 v20, v20, v23
	v_and_b32_e32 v28, v28, v22
	v_lshlrev_b32_e32 v23, 29, v27
	v_mov_b32_e32 v22, v21
	v_cmp_gt_i64_e64 s[12:13], 0, v[22:23]
	v_not_b32_e32 v22, v23
	v_ashrrev_i32_e32 v22, 31, v22
	v_xor_b32_e32 v23, s13, v22
	v_xor_b32_e32 v22, s12, v22
	v_and_b32_e32 v20, v20, v23
	v_and_b32_e32 v28, v28, v22
	v_lshlrev_b32_e32 v23, 28, v27
	v_mov_b32_e32 v22, v21
	v_cmp_gt_i64_e64 s[12:13], 0, v[22:23]
	v_not_b32_e32 v22, v23
	v_ashrrev_i32_e32 v22, 31, v22
	v_xor_b32_e32 v23, s13, v22
	v_xor_b32_e32 v22, s12, v22
	v_and_b32_e32 v20, v20, v23
	v_and_b32_e32 v28, v28, v22
	v_lshlrev_b32_e32 v23, 27, v27
	v_mov_b32_e32 v22, v21
	v_cmp_gt_i64_e64 s[12:13], 0, v[22:23]
	v_not_b32_e32 v22, v23
	v_ashrrev_i32_e32 v22, 31, v22
	v_xor_b32_e32 v23, s13, v22
	v_xor_b32_e32 v22, s12, v22
	v_and_b32_e32 v20, v20, v23
	v_and_b32_e32 v28, v28, v22
	v_lshlrev_b32_e32 v23, 26, v27
	v_mov_b32_e32 v22, v21
	v_cmp_gt_i64_e64 s[12:13], 0, v[22:23]
	v_not_b32_e32 v22, v23
	v_ashrrev_i32_e32 v22, 31, v22
	v_xor_b32_e32 v23, s13, v22
	v_xor_b32_e32 v22, s12, v22
	v_and_b32_e32 v20, v20, v23
	v_and_b32_e32 v28, v28, v22
	v_lshlrev_b32_e32 v23, 25, v27
	v_mov_b32_e32 v22, v21
	v_cmp_gt_i64_e64 s[12:13], 0, v[22:23]
	v_not_b32_e32 v22, v23
	v_ashrrev_i32_e32 v22, 31, v22
	v_xor_b32_e32 v23, s13, v22
	v_xor_b32_e32 v22, s12, v22
	v_and_b32_e32 v20, v20, v23
	v_lshlrev_b32_e32 v23, 24, v27
	v_and_b32_e32 v28, v28, v22
	v_mov_b32_e32 v22, v21
	v_not_b32_e32 v21, v23
	v_cmp_gt_i64_e64 s[12:13], 0, v[22:23]
	v_ashrrev_i32_e32 v21, 31, v21
	ds_read_b32 v25, v26 offset:64
	v_xor_b32_e32 v22, s13, v21
	v_xor_b32_e32 v23, s12, v21
	v_and_b32_e32 v21, v20, v22
	v_and_b32_e32 v20, v28, v23
	v_mbcnt_lo_u32_b32 v22, v20, 0
	v_mbcnt_hi_u32_b32 v27, v21, v22
	v_cmp_eq_u32_e64 s[12:13], 0, v27
	v_cmp_ne_u64_e64 s[14:15], 0, v[20:21]
	s_and_b64 s[14:15], s[14:15], s[12:13]
	; wave barrier
	s_and_saveexec_b64 s[12:13], s[14:15]
	s_cbranch_execz .LBB15_17
; %bb.16:
	v_bcnt_u32_b32 v20, v20, 0
	v_bcnt_u32_b32 v20, v21, v20
	s_waitcnt lgkmcnt(0)
	v_add_u32_e32 v20, v25, v20
	ds_write_b32 v26, v20 offset:64
.LBB15_17:
	s_or_b64 exec, exec, s[12:13]
	v_xor_b32_e32 v17, 0x7fffffff, v17
	v_not_b32_e32 v16, v16
	v_lshrrev_b64 v[20:21], s44, v[16:17]
	v_and_b32_e32 v30, s35, v20
	v_lshl_add_u32 v20, v30, 4, v30
	v_add_lshl_u32 v29, v31, v20, 2
	v_and_b32_e32 v20, 1, v30
	v_mov_b32_e32 v21, 0
	v_lshl_add_u64 v[22:23], v[20:21], 0, -1
	v_cmp_ne_u32_e64 s[12:13], 0, v20
	; wave barrier
	s_nop 1
	v_xor_b32_e32 v22, s12, v22
	v_xor_b32_e32 v20, s13, v23
	v_and_b32_e32 v32, exec_lo, v22
	v_lshlrev_b32_e32 v23, 30, v30
	v_mov_b32_e32 v22, v21
	v_cmp_gt_i64_e64 s[12:13], 0, v[22:23]
	v_not_b32_e32 v22, v23
	v_ashrrev_i32_e32 v22, 31, v22
	v_and_b32_e32 v20, exec_hi, v20
	v_xor_b32_e32 v23, s13, v22
	v_xor_b32_e32 v22, s12, v22
	v_and_b32_e32 v20, v20, v23
	v_and_b32_e32 v32, v32, v22
	v_lshlrev_b32_e32 v23, 29, v30
	v_mov_b32_e32 v22, v21
	v_cmp_gt_i64_e64 s[12:13], 0, v[22:23]
	v_not_b32_e32 v22, v23
	v_ashrrev_i32_e32 v22, 31, v22
	v_xor_b32_e32 v23, s13, v22
	v_xor_b32_e32 v22, s12, v22
	v_and_b32_e32 v20, v20, v23
	v_and_b32_e32 v32, v32, v22
	v_lshlrev_b32_e32 v23, 28, v30
	v_mov_b32_e32 v22, v21
	v_cmp_gt_i64_e64 s[12:13], 0, v[22:23]
	v_not_b32_e32 v22, v23
	v_ashrrev_i32_e32 v22, 31, v22
	v_xor_b32_e32 v23, s13, v22
	v_xor_b32_e32 v22, s12, v22
	v_and_b32_e32 v20, v20, v23
	v_and_b32_e32 v32, v32, v22
	v_lshlrev_b32_e32 v23, 27, v30
	v_mov_b32_e32 v22, v21
	v_cmp_gt_i64_e64 s[12:13], 0, v[22:23]
	v_not_b32_e32 v22, v23
	v_ashrrev_i32_e32 v22, 31, v22
	v_xor_b32_e32 v23, s13, v22
	v_xor_b32_e32 v22, s12, v22
	v_and_b32_e32 v20, v20, v23
	v_and_b32_e32 v32, v32, v22
	v_lshlrev_b32_e32 v23, 26, v30
	v_mov_b32_e32 v22, v21
	v_cmp_gt_i64_e64 s[12:13], 0, v[22:23]
	v_not_b32_e32 v22, v23
	v_ashrrev_i32_e32 v22, 31, v22
	v_xor_b32_e32 v23, s13, v22
	v_xor_b32_e32 v22, s12, v22
	v_and_b32_e32 v20, v20, v23
	v_and_b32_e32 v32, v32, v22
	v_lshlrev_b32_e32 v23, 25, v30
	v_mov_b32_e32 v22, v21
	v_cmp_gt_i64_e64 s[12:13], 0, v[22:23]
	v_not_b32_e32 v22, v23
	v_ashrrev_i32_e32 v22, 31, v22
	v_xor_b32_e32 v23, s13, v22
	v_xor_b32_e32 v22, s12, v22
	v_and_b32_e32 v20, v20, v23
	v_and_b32_e32 v32, v32, v22
	v_lshlrev_b32_e32 v23, 24, v30
	v_mov_b32_e32 v22, v21
	v_cmp_gt_i64_e64 s[12:13], 0, v[22:23]
	v_not_b32_e32 v22, v23
	v_ashrrev_i32_e32 v22, 31, v22
	v_xor_b32_e32 v23, s13, v22
	v_xor_b32_e32 v22, s12, v22
	ds_read_b32 v28, v29 offset:64
	v_and_b32_e32 v22, v32, v22
	v_and_b32_e32 v23, v20, v23
	v_mbcnt_lo_u32_b32 v20, v22, 0
	v_mbcnt_hi_u32_b32 v30, v23, v20
	v_cmp_eq_u32_e64 s[12:13], 0, v30
	v_cmp_ne_u64_e64 s[14:15], 0, v[22:23]
	s_and_b64 s[14:15], s[14:15], s[12:13]
	; wave barrier
	s_and_saveexec_b64 s[12:13], s[14:15]
	s_cbranch_execz .LBB15_19
; %bb.18:
	v_bcnt_u32_b32 v20, v22, 0
	v_bcnt_u32_b32 v20, v23, v20
	s_waitcnt lgkmcnt(0)
	v_add_u32_e32 v20, v28, v20
	ds_write_b32 v29, v20 offset:64
.LBB15_19:
	s_or_b64 exec, exec, s[12:13]
	v_xor_b32_e32 v19, 0x7fffffff, v19
	v_not_b32_e32 v18, v18
	v_lshrrev_b64 v[22:23], s44, v[18:19]
	v_and_b32_e32 v34, s35, v22
	v_lshl_add_u32 v20, v34, 4, v34
	v_add_lshl_u32 v33, v31, v20, 2
	v_and_b32_e32 v20, 1, v34
	v_lshl_add_u64 v[22:23], v[20:21], 0, -1
	v_cmp_ne_u32_e64 s[12:13], 0, v20
	; wave barrier
	s_nop 1
	v_xor_b32_e32 v22, s12, v22
	v_xor_b32_e32 v20, s13, v23
	v_and_b32_e32 v35, exec_lo, v22
	v_lshlrev_b32_e32 v23, 30, v34
	v_mov_b32_e32 v22, v21
	v_cmp_gt_i64_e64 s[12:13], 0, v[22:23]
	v_not_b32_e32 v22, v23
	v_ashrrev_i32_e32 v22, 31, v22
	v_and_b32_e32 v20, exec_hi, v20
	v_xor_b32_e32 v23, s13, v22
	v_xor_b32_e32 v22, s12, v22
	v_and_b32_e32 v20, v20, v23
	v_and_b32_e32 v35, v35, v22
	v_lshlrev_b32_e32 v23, 29, v34
	v_mov_b32_e32 v22, v21
	v_cmp_gt_i64_e64 s[12:13], 0, v[22:23]
	v_not_b32_e32 v22, v23
	v_ashrrev_i32_e32 v22, 31, v22
	v_xor_b32_e32 v23, s13, v22
	v_xor_b32_e32 v22, s12, v22
	v_and_b32_e32 v20, v20, v23
	v_and_b32_e32 v35, v35, v22
	v_lshlrev_b32_e32 v23, 28, v34
	v_mov_b32_e32 v22, v21
	v_cmp_gt_i64_e64 s[12:13], 0, v[22:23]
	v_not_b32_e32 v22, v23
	v_ashrrev_i32_e32 v22, 31, v22
	;; [unrolled: 9-line block ×5, first 2 shown]
	v_xor_b32_e32 v23, s13, v22
	v_xor_b32_e32 v22, s12, v22
	v_and_b32_e32 v20, v20, v23
	v_lshlrev_b32_e32 v23, 24, v34
	v_and_b32_e32 v35, v35, v22
	v_mov_b32_e32 v22, v21
	v_not_b32_e32 v21, v23
	v_cmp_gt_i64_e64 s[12:13], 0, v[22:23]
	v_ashrrev_i32_e32 v21, 31, v21
	ds_read_b32 v32, v33 offset:64
	v_xor_b32_e32 v22, s13, v21
	v_xor_b32_e32 v23, s12, v21
	v_and_b32_e32 v21, v20, v22
	v_and_b32_e32 v20, v35, v23
	v_mbcnt_lo_u32_b32 v22, v20, 0
	v_mbcnt_hi_u32_b32 v34, v21, v22
	v_cmp_eq_u32_e64 s[12:13], 0, v34
	v_cmp_ne_u64_e64 s[14:15], 0, v[20:21]
	s_and_b64 s[14:15], s[14:15], s[12:13]
	; wave barrier
	s_and_saveexec_b64 s[12:13], s[14:15]
	s_cbranch_execz .LBB15_21
; %bb.20:
	v_bcnt_u32_b32 v20, v20, 0
	v_bcnt_u32_b32 v20, v21, v20
	s_waitcnt lgkmcnt(0)
	v_add_u32_e32 v20, v32, v20
	ds_write_b32 v33, v20 offset:64
.LBB15_21:
	s_or_b64 exec, exec, s[12:13]
	v_xor_b32_e32 v21, 0x7fffffff, v15
	v_not_b32_e32 v20, v14
	v_lshrrev_b64 v[14:15], s44, v[20:21]
	v_and_b32_e32 v37, s35, v14
	v_lshl_add_u32 v14, v37, 4, v37
	v_add_lshl_u32 v36, v31, v14, 2
	v_and_b32_e32 v14, 1, v37
	v_mov_b32_e32 v15, 0
	v_lshl_add_u64 v[22:23], v[14:15], 0, -1
	v_cmp_ne_u32_e64 s[12:13], 0, v14
	; wave barrier
	s_nop 1
	v_xor_b32_e32 v22, s12, v22
	v_xor_b32_e32 v14, s13, v23
	v_and_b32_e32 v38, exec_lo, v22
	v_lshlrev_b32_e32 v23, 30, v37
	v_mov_b32_e32 v22, v15
	v_cmp_gt_i64_e64 s[12:13], 0, v[22:23]
	v_not_b32_e32 v22, v23
	v_ashrrev_i32_e32 v22, 31, v22
	v_and_b32_e32 v14, exec_hi, v14
	v_xor_b32_e32 v23, s13, v22
	v_xor_b32_e32 v22, s12, v22
	v_and_b32_e32 v14, v14, v23
	v_and_b32_e32 v38, v38, v22
	v_lshlrev_b32_e32 v23, 29, v37
	v_mov_b32_e32 v22, v15
	v_cmp_gt_i64_e64 s[12:13], 0, v[22:23]
	v_not_b32_e32 v22, v23
	v_ashrrev_i32_e32 v22, 31, v22
	v_xor_b32_e32 v23, s13, v22
	v_xor_b32_e32 v22, s12, v22
	v_and_b32_e32 v14, v14, v23
	v_and_b32_e32 v38, v38, v22
	v_lshlrev_b32_e32 v23, 28, v37
	v_mov_b32_e32 v22, v15
	v_cmp_gt_i64_e64 s[12:13], 0, v[22:23]
	v_not_b32_e32 v22, v23
	v_ashrrev_i32_e32 v22, 31, v22
	;; [unrolled: 9-line block ×6, first 2 shown]
	v_xor_b32_e32 v23, s13, v22
	v_xor_b32_e32 v22, s12, v22
	ds_read_b32 v35, v36 offset:64
	v_and_b32_e32 v22, v38, v22
	v_and_b32_e32 v23, v14, v23
	v_mbcnt_lo_u32_b32 v14, v22, 0
	v_mbcnt_hi_u32_b32 v37, v23, v14
	v_cmp_eq_u32_e64 s[12:13], 0, v37
	v_cmp_ne_u64_e64 s[14:15], 0, v[22:23]
	s_and_b64 s[14:15], s[14:15], s[12:13]
	; wave barrier
	s_and_saveexec_b64 s[12:13], s[14:15]
	s_cbranch_execz .LBB15_23
; %bb.22:
	v_bcnt_u32_b32 v14, v22, 0
	v_bcnt_u32_b32 v14, v23, v14
	s_waitcnt lgkmcnt(0)
	v_add_u32_e32 v14, v35, v14
	ds_write_b32 v36, v14 offset:64
.LBB15_23:
	s_or_b64 exec, exec, s[12:13]
	v_xor_b32_e32 v23, 0x7fffffff, v13
	v_not_b32_e32 v22, v12
	v_lshrrev_b64 v[12:13], s44, v[22:23]
	v_and_b32_e32 v40, s35, v12
	v_lshl_add_u32 v12, v40, 4, v40
	v_and_b32_e32 v14, 1, v40
	v_add_lshl_u32 v39, v31, v12, 2
	v_lshl_add_u64 v[12:13], v[14:15], 0, -1
	v_cmp_ne_u32_e64 s[12:13], 0, v14
	; wave barrier
	s_nop 1
	v_xor_b32_e32 v13, s13, v13
	v_xor_b32_e32 v12, s12, v12
	v_and_b32_e32 v14, exec_hi, v13
	v_and_b32_e32 v41, exec_lo, v12
	v_lshlrev_b32_e32 v13, 30, v40
	v_mov_b32_e32 v12, v15
	v_cmp_gt_i64_e64 s[12:13], 0, v[12:13]
	v_not_b32_e32 v12, v13
	v_ashrrev_i32_e32 v12, 31, v12
	v_xor_b32_e32 v13, s13, v12
	v_xor_b32_e32 v12, s12, v12
	v_and_b32_e32 v14, v14, v13
	v_and_b32_e32 v41, v41, v12
	v_lshlrev_b32_e32 v13, 29, v40
	v_mov_b32_e32 v12, v15
	v_cmp_gt_i64_e64 s[12:13], 0, v[12:13]
	v_not_b32_e32 v12, v13
	v_ashrrev_i32_e32 v12, 31, v12
	v_xor_b32_e32 v13, s13, v12
	v_xor_b32_e32 v12, s12, v12
	v_and_b32_e32 v14, v14, v13
	v_and_b32_e32 v41, v41, v12
	;; [unrolled: 9-line block ×6, first 2 shown]
	v_lshlrev_b32_e32 v13, 24, v40
	v_mov_b32_e32 v12, v15
	v_cmp_gt_i64_e64 s[12:13], 0, v[12:13]
	v_not_b32_e32 v12, v13
	v_ashrrev_i32_e32 v12, 31, v12
	v_xor_b32_e32 v13, s13, v12
	v_xor_b32_e32 v12, s12, v12
	ds_read_b32 v31, v39 offset:64
	v_and_b32_e32 v12, v41, v12
	v_and_b32_e32 v13, v14, v13
	v_mbcnt_lo_u32_b32 v14, v12, 0
	v_mbcnt_hi_u32_b32 v40, v13, v14
	v_cmp_eq_u32_e64 s[12:13], 0, v40
	v_cmp_ne_u64_e64 s[14:15], 0, v[12:13]
	v_add_u32_e32 v38, 64, v3
	s_and_b64 s[14:15], s[14:15], s[12:13]
	; wave barrier
	s_and_saveexec_b64 s[12:13], s[14:15]
	s_cbranch_execz .LBB15_25
; %bb.24:
	v_bcnt_u32_b32 v12, v12, 0
	v_bcnt_u32_b32 v12, v13, v12
	s_waitcnt lgkmcnt(0)
	v_add_u32_e32 v12, v31, v12
	ds_write_b32 v39, v12 offset:64
.LBB15_25:
	s_or_b64 exec, exec, s[12:13]
	; wave barrier
	s_waitcnt lgkmcnt(0)
	s_barrier
	ds_read2_b32 v[14:15], v3 offset0:16 offset1:17
	ds_read2_b32 v[12:13], v38 offset0:2 offset1:3
	ds_read_b32 v41, v38 offset:16
	v_cmp_lt_u32_e64 s[20:21], 31, v4
	s_waitcnt lgkmcnt(1)
	v_add3_u32 v42, v15, v14, v12
	s_waitcnt lgkmcnt(0)
	v_add3_u32 v41, v42, v13, v41
	v_and_b32_e32 v42, 15, v4
	v_cmp_eq_u32_e64 s[12:13], 0, v42
	v_mov_b32_dpp v43, v41 row_shr:1 row_mask:0xf bank_mask:0xf
	v_cmp_lt_u32_e64 s[14:15], 1, v42
	v_cndmask_b32_e64 v43, v43, 0, s[12:13]
	v_add_u32_e32 v41, v43, v41
	v_cmp_lt_u32_e64 s[16:17], 3, v42
	v_cmp_lt_u32_e64 s[18:19], 7, v42
	v_mov_b32_dpp v43, v41 row_shr:2 row_mask:0xf bank_mask:0xf
	v_cndmask_b32_e64 v43, 0, v43, s[14:15]
	v_add_u32_e32 v41, v41, v43
	s_nop 1
	v_mov_b32_dpp v43, v41 row_shr:4 row_mask:0xf bank_mask:0xf
	v_cndmask_b32_e64 v43, 0, v43, s[16:17]
	v_add_u32_e32 v41, v41, v43
	s_nop 1
	v_mov_b32_dpp v43, v41 row_shr:8 row_mask:0xf bank_mask:0xf
	v_cndmask_b32_e64 v42, 0, v43, s[18:19]
	v_add_u32_e32 v41, v41, v42
	v_bfe_i32 v43, v4, 4, 1
	s_nop 0
	v_mov_b32_dpp v42, v41 row_bcast:15 row_mask:0xf bank_mask:0xf
	v_and_b32_e32 v42, v43, v42
	v_add_u32_e32 v41, v41, v42
	v_and_b32_e32 v43, 63, v2
	s_nop 0
	v_mov_b32_dpp v42, v41 row_bcast:31 row_mask:0xf bank_mask:0xf
	v_cndmask_b32_e64 v42, 0, v42, s[20:21]
	v_add_u32_e32 v41, v41, v42
	v_lshrrev_b32_e32 v42, 6, v2
	v_cmp_eq_u32_e64 s[20:21], 63, v43
	s_and_saveexec_b64 s[22:23], s[20:21]
	s_cbranch_execz .LBB15_27
; %bb.26:
	v_lshlrev_b32_e32 v43, 2, v42
	ds_write_b32 v43, v41
.LBB15_27:
	s_or_b64 exec, exec, s[22:23]
	v_cmp_gt_u32_e64 s[20:21], 16, v2
	s_waitcnt lgkmcnt(0)
	s_barrier
	s_and_saveexec_b64 s[22:23], s[20:21]
	s_cbranch_execz .LBB15_29
; %bb.28:
	v_lshlrev_b32_e32 v43, 2, v2
	ds_read_b32 v44, v43
	s_waitcnt lgkmcnt(0)
	s_nop 0
	v_mov_b32_dpp v45, v44 row_shr:1 row_mask:0xf bank_mask:0xf
	v_cndmask_b32_e64 v45, v45, 0, s[12:13]
	v_add_u32_e32 v44, v45, v44
	s_nop 1
	v_mov_b32_dpp v45, v44 row_shr:2 row_mask:0xf bank_mask:0xf
	v_cndmask_b32_e64 v45, 0, v45, s[14:15]
	v_add_u32_e32 v44, v44, v45
	;; [unrolled: 4-line block ×4, first 2 shown]
	ds_write_b32 v43, v44
.LBB15_29:
	s_or_b64 exec, exec, s[22:23]
	v_cmp_lt_u32_e64 s[12:13], 63, v2
	v_mov_b32_e32 v43, 0
	s_waitcnt lgkmcnt(0)
	s_barrier
	s_and_saveexec_b64 s[14:15], s[12:13]
	s_cbranch_execz .LBB15_31
; %bb.30:
	v_lshl_add_u32 v42, v42, 2, -4
	ds_read_b32 v43, v42
.LBB15_31:
	s_or_b64 exec, exec, s[14:15]
	v_add_u32_e32 v42, -1, v4
	v_and_b32_e32 v44, 64, v4
	v_cmp_lt_i32_e64 s[12:13], v42, v44
	s_waitcnt lgkmcnt(0)
	v_add_u32_e32 v41, v43, v41
	v_cndmask_b32_e64 v42, v42, v4, s[12:13]
	v_lshlrev_b32_e32 v42, 2, v42
	ds_bpermute_b32 v41, v42, v41
	v_cmp_eq_u32_e64 s[12:13], 0, v4
	s_waitcnt lgkmcnt(0)
	s_nop 0
	v_cndmask_b32_e64 v41, v41, v43, s[12:13]
	v_cmp_ne_u32_e64 s[12:13], 0, v2
	s_nop 1
	v_cndmask_b32_e64 v41, 0, v41, s[12:13]
	v_add_u32_e32 v14, v41, v14
	v_add_u32_e32 v15, v14, v15
	;; [unrolled: 1-line block ×4, first 2 shown]
	ds_write2_b32 v3, v41, v14 offset0:16 offset1:17
	ds_write2_b32 v38, v15, v12 offset0:2 offset1:3
	ds_write_b32 v38, v13 offset:16
	s_waitcnt lgkmcnt(0)
	s_barrier
	ds_read_b32 v3, v7 offset:64
	ds_read_b32 v15, v26 offset:64
	ds_read_b32 v26, v29 offset:64
	ds_read_b32 v29, v33 offset:64
	ds_read_b32 v33, v36 offset:64
	ds_read_b32 v36, v39 offset:64
	s_movk_i32 s12, 0x100
	v_cmp_gt_u32_e64 s[12:13], s12, v2
	v_mov_b64_e32 v[12:13], 0
                                        ; implicit-def: $vgpr14
	s_and_saveexec_b64 s[16:17], s[12:13]
	s_cbranch_execz .LBB15_35
; %bb.32:
	v_mul_u32_u24_e32 v7, 17, v2
	v_lshlrev_b32_e32 v13, 2, v7
	ds_read_b32 v12, v13 offset:64
	s_movk_i32 s14, 0xff
	v_cmp_ne_u32_e64 s[14:15], s14, v2
	v_mov_b32_e32 v7, 0x1800
	s_and_saveexec_b64 s[18:19], s[14:15]
	s_cbranch_execz .LBB15_34
; %bb.33:
	ds_read_b32 v7, v13 offset:132
.LBB15_34:
	s_or_b64 exec, exec, s[18:19]
	s_waitcnt lgkmcnt(0)
	v_sub_u32_e32 v14, v7, v12
	v_mov_b32_e32 v13, 0
.LBB15_35:
	s_or_b64 exec, exec, s[16:17]
	s_waitcnt lgkmcnt(5)
	v_add_u32_e32 v3, v3, v24
	s_waitcnt lgkmcnt(4)
	v_add3_u32 v15, v27, v25, v15
	s_waitcnt lgkmcnt(3)
	v_add3_u32 v24, v30, v28, v26
	v_lshlrev_b32_e32 v28, 3, v3
	s_waitcnt lgkmcnt(0)
	s_barrier
	ds_write_b64 v28, v[8:9] offset:2048
	v_lshlrev_b32_e32 v8, 3, v15
	v_add3_u32 v25, v34, v32, v29
	ds_write_b64 v8, v[10:11] offset:2048
	v_lshlrev_b32_e32 v8, 3, v24
	v_add3_u32 v26, v37, v35, v33
	;; [unrolled: 3-line block ×3, first 2 shown]
	ds_write_b64 v8, v[18:19] offset:2048
	v_lshlrev_b32_e32 v8, 3, v26
	v_mov_b32_e32 v7, v5
	ds_write_b64 v8, v[20:21] offset:2048
	v_lshlrev_b32_e32 v8, 3, v27
	ds_write_b64 v8, v[22:23] offset:2048
	s_waitcnt lgkmcnt(0)
	s_barrier
	s_and_saveexec_b64 s[16:17], s[12:13]
	s_cbranch_execz .LBB15_45
; %bb.36:
	v_lshl_or_b32 v10, s2, 8, v2
	v_mov_b32_e32 v11, 0
	v_lshl_add_u64 v[8:9], v[10:11], 2, s[48:49]
	v_or_b32_e32 v10, 2.0, v14
	s_mov_b64 s[18:19], 0
	s_brev_b32 s24, 1
	s_mov_b32 s25, s2
	v_mov_b32_e32 v18, 0
	global_store_dword v[8:9], v10, off sc1
                                        ; implicit-def: $sgpr14_sgpr15
	s_branch .LBB15_38
.LBB15_37:                              ;   in Loop: Header=BB15_38 Depth=1
	s_or_b64 exec, exec, s[20:21]
	v_and_b32_e32 v16, 0x3fffffff, v19
	v_add_u32_e32 v18, v16, v18
	v_cmp_eq_u32_e64 s[14:15], s24, v10
	s_and_b64 s[20:21], exec, s[14:15]
	s_or_b64 s[18:19], s[20:21], s[18:19]
	s_andn2_b64 exec, exec, s[18:19]
	s_cbranch_execz .LBB15_44
.LBB15_38:                              ; =>This Loop Header: Depth=1
                                        ;     Child Loop BB15_41 Depth 2
	s_or_b64 s[14:15], s[14:15], exec
	s_cmp_eq_u32 s25, 0
	s_cbranch_scc1 .LBB15_43
; %bb.39:                               ;   in Loop: Header=BB15_38 Depth=1
	s_add_i32 s25, s25, -1
	v_lshl_or_b32 v10, s25, 8, v2
	v_lshl_add_u64 v[16:17], v[10:11], 2, s[48:49]
	global_load_dword v19, v[16:17], off sc1
	s_waitcnt vmcnt(0)
	v_and_b32_e32 v10, -2.0, v19
	v_cmp_eq_u32_e64 s[14:15], 0, v10
	s_and_saveexec_b64 s[20:21], s[14:15]
	s_cbranch_execz .LBB15_37
; %bb.40:                               ;   in Loop: Header=BB15_38 Depth=1
	s_mov_b64 s[22:23], 0
.LBB15_41:                              ;   Parent Loop BB15_38 Depth=1
                                        ; =>  This Inner Loop Header: Depth=2
	global_load_dword v19, v[16:17], off sc1
	s_waitcnt vmcnt(0)
	v_and_b32_e32 v10, -2.0, v19
	v_cmp_ne_u32_e64 s[14:15], 0, v10
	s_or_b64 s[22:23], s[14:15], s[22:23]
	s_andn2_b64 exec, exec, s[22:23]
	s_cbranch_execnz .LBB15_41
; %bb.42:                               ;   in Loop: Header=BB15_38 Depth=1
	s_or_b64 exec, exec, s[22:23]
	s_branch .LBB15_37
.LBB15_43:                              ;   in Loop: Header=BB15_38 Depth=1
                                        ; implicit-def: $sgpr25
	s_and_b64 s[20:21], exec, s[14:15]
	s_or_b64 s[18:19], s[20:21], s[18:19]
	s_andn2_b64 exec, exec, s[18:19]
	s_cbranch_execnz .LBB15_38
.LBB15_44:
	s_or_b64 exec, exec, s[18:19]
	v_add_u32_e32 v10, v18, v14
	v_or_b32_e32 v10, 0x80000000, v10
	global_store_dword v[8:9], v10, off sc1
	v_lshlrev_b32_e32 v16, 3, v2
	global_load_dwordx2 v[8:9], v16, s[28:29]
	v_sub_co_u32_e64 v10, s[14:15], v18, v12
	s_nop 1
	v_subb_co_u32_e64 v11, s[14:15], 0, v13, s[14:15]
	s_waitcnt vmcnt(0)
	v_lshl_add_u64 v[8:9], v[10:11], 0, v[8:9]
	ds_write_b64 v16, v[8:9]
.LBB15_45:
	s_or_b64 exec, exec, s[16:17]
	v_cmp_gt_u32_e64 s[14:15], s33, v2
	v_lshlrev_b32_e32 v8, 3, v2
	s_waitcnt lgkmcnt(0)
	s_barrier
	s_and_saveexec_b64 s[16:17], s[14:15]
	s_cbranch_execz .LBB15_47
; %bb.46:
	ds_read_b64 v[10:11], v8 offset:2048
	s_waitcnt lgkmcnt(0)
	v_lshrrev_b64 v[16:17], s44, v[10:11]
	v_and_b32_e32 v9, s35, v16
	v_lshlrev_b32_e32 v9, 3, v9
	ds_read_b64 v[16:17], v9
	v_mov_b32_e32 v9, 0
	v_xor_b32_e32 v11, 0x7fffffff, v11
	v_not_b32_e32 v10, v10
	s_waitcnt lgkmcnt(0)
	v_lshl_add_u64 v[16:17], v[16:17], 3, s[38:39]
	v_lshl_add_u64 v[16:17], v[16:17], 0, v[8:9]
	global_store_dwordx2 v[16:17], v[10:11], off
.LBB15_47:
	s_or_b64 exec, exec, s[16:17]
	v_or_b32_e32 v9, 0x400, v2
	v_cmp_gt_u32_e64 s[16:17], s33, v9
	s_and_saveexec_b64 s[18:19], s[16:17]
	s_cbranch_execz .LBB15_49
; %bb.48:
	ds_read_b64 v[10:11], v8 offset:10240
	v_lshlrev_b32_e32 v18, 3, v9
	v_mov_b32_e32 v19, 0
	s_waitcnt lgkmcnt(0)
	v_lshrrev_b64 v[16:17], s44, v[10:11]
	v_and_b32_e32 v16, s35, v16
	v_lshlrev_b32_e32 v16, 3, v16
	ds_read_b64 v[16:17], v16
	v_xor_b32_e32 v11, 0x7fffffff, v11
	v_not_b32_e32 v10, v10
	s_waitcnt lgkmcnt(0)
	v_lshl_add_u64 v[16:17], v[16:17], 3, s[38:39]
	v_lshl_add_u64 v[16:17], v[16:17], 0, v[18:19]
	global_store_dwordx2 v[16:17], v[10:11], off
.LBB15_49:
	s_or_b64 exec, exec, s[18:19]
	v_or_b32_e32 v9, 0x800, v2
	v_cmp_gt_u32_e64 s[18:19], s33, v9
	s_and_saveexec_b64 s[20:21], s[18:19]
	s_cbranch_execz .LBB15_51
; %bb.50:
	ds_read_b64 v[10:11], v8 offset:18432
	v_lshlrev_b32_e32 v18, 3, v9
	v_mov_b32_e32 v19, 0
	s_waitcnt lgkmcnt(0)
	v_lshrrev_b64 v[16:17], s44, v[10:11]
	v_and_b32_e32 v16, s35, v16
	v_lshlrev_b32_e32 v16, 3, v16
	ds_read_b64 v[16:17], v16
	v_xor_b32_e32 v11, 0x7fffffff, v11
	v_not_b32_e32 v10, v10
	s_waitcnt lgkmcnt(0)
	v_lshl_add_u64 v[16:17], v[16:17], 3, s[38:39]
	v_lshl_add_u64 v[16:17], v[16:17], 0, v[18:19]
	global_store_dwordx2 v[16:17], v[10:11], off
.LBB15_51:
	;; [unrolled: 21-line block ×5, first 2 shown]
	s_or_b64 exec, exec, s[46:47]
	s_add_u32 s46, s40, s34
	s_addc_u32 s47, s41, 0
	v_lshl_add_u64 v[4:5], s[46:47], 0, v[4:5]
	v_lshl_add_u64 v[4:5], v[4:5], 0, v[6:7]
                                        ; implicit-def: $vgpr6
	s_and_saveexec_b64 s[46:47], vcc
	s_xor_b64 s[46:47], exec, s[46:47]
	s_cbranch_execnz .LBB15_127
; %bb.58:
	s_or_b64 exec, exec, s[46:47]
                                        ; implicit-def: $vgpr7
	s_and_saveexec_b64 s[46:47], s[26:27]
	s_cbranch_execnz .LBB15_128
.LBB15_59:
	s_or_b64 exec, exec, s[46:47]
                                        ; implicit-def: $vgpr9
	s_and_saveexec_b64 s[26:27], s[4:5]
	s_cbranch_execnz .LBB15_129
.LBB15_60:
	s_or_b64 exec, exec, s[26:27]
                                        ; implicit-def: $vgpr11
	s_and_saveexec_b64 s[4:5], s[6:7]
	s_cbranch_execnz .LBB15_130
.LBB15_61:
	s_or_b64 exec, exec, s[4:5]
                                        ; implicit-def: $vgpr19
	s_and_saveexec_b64 s[4:5], s[8:9]
	s_cbranch_execnz .LBB15_131
.LBB15_62:
	s_or_b64 exec, exec, s[4:5]
                                        ; implicit-def: $vgpr21
	s_and_saveexec_b64 s[4:5], s[10:11]
	s_cbranch_execz .LBB15_64
.LBB15_63:
	global_load_ubyte v21, v[4:5], off offset:320
.LBB15_64:
	s_or_b64 exec, exec, s[4:5]
	v_mov_b32_e32 v17, 0
	v_mov_b32_e32 v22, 0
	s_and_saveexec_b64 s[4:5], s[14:15]
	s_cbranch_execz .LBB15_66
; %bb.65:
	ds_read_b64 v[4:5], v8 offset:2048
	s_waitcnt lgkmcnt(0)
	v_lshrrev_b64 v[4:5], s44, v[4:5]
	v_and_b32_e32 v22, s35, v4
.LBB15_66:
	s_or_b64 exec, exec, s[4:5]
	s_and_saveexec_b64 s[4:5], s[16:17]
	s_cbranch_execz .LBB15_68
; %bb.67:
	ds_read_b64 v[4:5], v8 offset:10240
	s_waitcnt lgkmcnt(0)
	v_lshrrev_b64 v[4:5], s44, v[4:5]
	v_and_b32_e32 v17, s35, v4
.LBB15_68:
	s_or_b64 exec, exec, s[4:5]
	v_mov_b32_e32 v5, 0
	v_mov_b32_e32 v20, 0
	s_and_saveexec_b64 s[4:5], s[18:19]
	s_cbranch_execz .LBB15_70
; %bb.69:
	ds_read_b64 v[28:29], v8 offset:18432
	s_waitcnt lgkmcnt(0)
	v_lshrrev_b64 v[28:29], s44, v[28:29]
	v_and_b32_e32 v20, s35, v28
.LBB15_70:
	s_or_b64 exec, exec, s[4:5]
	s_and_saveexec_b64 s[4:5], s[20:21]
	s_cbranch_execz .LBB15_72
; %bb.71:
	ds_read_b64 v[4:5], v8 offset:26624
	s_waitcnt lgkmcnt(0)
	v_lshrrev_b64 v[4:5], s44, v[4:5]
	v_and_b32_e32 v5, s35, v4
.LBB15_72:
	;; [unrolled: 20-line block ×3, first 2 shown]
	s_or_b64 exec, exec, s[4:5]
	s_barrier
	s_waitcnt vmcnt(0)
	ds_write_b8 v3, v6 offset:2048
	ds_write_b8 v15, v7 offset:2048
	ds_write_b8 v24, v9 offset:2048
	ds_write_b8 v25, v11 offset:2048
	ds_write_b8 v26, v19 offset:2048
	ds_write_b8 v27, v21 offset:2048
	s_waitcnt lgkmcnt(0)
	s_barrier
	s_and_saveexec_b64 s[4:5], s[14:15]
	s_cbranch_execnz .LBB15_132
; %bb.77:
	s_or_b64 exec, exec, s[4:5]
	s_and_saveexec_b64 s[4:5], s[16:17]
	s_cbranch_execnz .LBB15_133
.LBB15_78:
	s_or_b64 exec, exec, s[4:5]
	s_and_saveexec_b64 s[4:5], s[18:19]
	s_cbranch_execnz .LBB15_134
.LBB15_79:
	s_or_b64 exec, exec, s[4:5]
	s_and_saveexec_b64 s[4:5], s[20:21]
	s_cbranch_execnz .LBB15_135
.LBB15_80:
	s_or_b64 exec, exec, s[4:5]
	s_and_saveexec_b64 s[4:5], s[22:23]
	s_cbranch_execnz .LBB15_136
.LBB15_81:
	s_or_b64 exec, exec, s[4:5]
	s_and_saveexec_b64 s[4:5], s[24:25]
	s_cbranch_execz .LBB15_83
.LBB15_82:
	v_lshlrev_b32_e32 v3, 3, v4
	ds_read_b64 v[4:5], v3
	ds_read_u8 v3, v2 offset:7168
	v_mov_b32_e32 v17, 0
	s_waitcnt lgkmcnt(1)
	v_lshl_add_u64 v[4:5], s[42:43], 0, v[4:5]
	v_lshl_add_u64 v[4:5], v[4:5], 0, v[16:17]
	s_waitcnt lgkmcnt(0)
	global_store_byte v[4:5], v3, off
.LBB15_83:
	s_or_b64 exec, exec, s[4:5]
	s_add_i32 s3, s3, -1
	s_cmp_eq_u32 s2, s3
	s_cselect_b64 s[4:5], -1, 0
	s_and_b64 s[6:7], s[12:13], s[4:5]
	s_mov_b64 s[4:5], 0
	s_mov_b64 s[10:11], 0
                                        ; implicit-def: $vgpr4_vgpr5
	s_and_saveexec_b64 s[8:9], s[6:7]
	s_xor_b64 s[6:7], exec, s[8:9]
; %bb.84:
	v_mov_b32_e32 v15, 0
	s_mov_b64 s[10:11], exec
	v_lshl_add_u64 v[4:5], v[12:13], 0, v[14:15]
	v_mov_b32_e32 v3, v15
; %bb.85:
	s_or_b64 exec, exec, s[6:7]
	s_and_b64 vcc, exec, s[4:5]
	s_cbranch_vccnz .LBB15_87
	s_branch .LBB15_124
.LBB15_86:
	s_mov_b64 s[10:11], 0
                                        ; implicit-def: $vgpr4_vgpr5
                                        ; implicit-def: $vgpr2_vgpr3
	s_cbranch_execz .LBB15_124
.LBB15_87:
	s_mov_b32 s35, 0
	v_and_b32_e32 v2, 0x3ff, v0
	s_lshl_b64 s[4:5], s[34:35], 3
	s_add_u32 s4, s36, s4
	v_mov_b32_e32 v5, 0
	v_mbcnt_hi_u32_b32 v4, -1, v1
	v_and_b32_e32 v1, 0x3c0, v2
	s_addc_u32 s5, s37, s5
	v_mul_u32_u24_e32 v6, 6, v1
	v_lshlrev_b32_e32 v8, 3, v4
	v_mov_b32_e32 v9, v5
	v_lshl_add_u64 v[8:9], s[4:5], 0, v[8:9]
	v_lshlrev_b32_e32 v10, 3, v6
	v_mov_b32_e32 v11, v5
	v_lshl_add_u64 v[18:19], v[8:9], 0, v[10:11]
	global_load_dwordx2 v[20:21], v[18:19], off
	s_load_dword s4, s[0:1], 0x5c
	s_load_dword s3, s[0:1], 0x50
	s_add_u32 s0, s0, 0x50
	s_addc_u32 s1, s1, 0
	v_mul_u32_u24_e32 v3, 5, v2
	s_waitcnt lgkmcnt(0)
	s_lshr_b32 s4, s4, 16
	s_cmp_lt_u32 s2, s3
	s_cselect_b32 s5, 12, 18
	s_add_u32 s0, s0, s5
	s_addc_u32 s1, s1, 0
	global_load_ushort v7, v5, s[0:1]
	v_lshlrev_b32_e32 v3, 2, v3
	ds_write2_b32 v3, v5, v5 offset0:16 offset1:17
	ds_write2_b32 v3, v5, v5 offset0:18 offset1:19
	ds_write_b32 v3, v5 offset:80
	global_load_dwordx2 v[8:9], v[18:19], off offset:512
	global_load_dwordx2 v[10:11], v[18:19], off offset:1024
	global_load_dwordx2 v[14:15], v[18:19], off offset:1536
	global_load_dwordx2 v[16:17], v[18:19], off offset:2048
	global_load_dwordx2 v[12:13], v[18:19], off offset:2560
	v_bfe_u32 v1, v0, 10, 10
	v_bfe_u32 v0, v0, 20, 10
	v_mad_u32_u24 v32, v0, s4, v1
	s_lshl_b32 s0, -1, s45
	s_not_b32 s14, s0
	v_mov_b32_e32 v23, v5
	v_mov_b32_e32 v24, v5
	;; [unrolled: 1-line block ×5, first 2 shown]
	s_waitcnt lgkmcnt(0)
	s_barrier
	s_waitcnt lgkmcnt(0)
	; wave barrier
	s_waitcnt vmcnt(6)
	v_xor_b32_e32 v1, 0x7fffffff, v21
	v_not_b32_e32 v0, v20
	v_lshrrev_b64 v[18:19], s44, v[0:1]
	v_and_b32_e32 v33, s14, v18
	v_and_b32_e32 v22, 1, v33
	v_lshlrev_b32_e32 v25, 30, v33
	v_lshlrev_b32_e32 v27, 29, v33
	;; [unrolled: 1-line block ×3, first 2 shown]
	v_lshl_add_u64 v[20:21], v[22:23], 0, -1
	v_cmp_ne_u32_e32 vcc, 0, v22
	s_waitcnt vmcnt(5)
	v_mad_u64_u32 v[18:19], s[0:1], v32, v7, v[2:3]
	v_not_b32_e32 v7, v25
	v_cmp_gt_i64_e64 s[0:1], 0, v[24:25]
	v_not_b32_e32 v19, v27
	v_cmp_gt_i64_e64 s[6:7], 0, v[28:29]
	v_lshrrev_b32_e32 v28, 6, v18
	v_xor_b32_e32 v18, vcc_hi, v21
	v_xor_b32_e32 v20, vcc_lo, v20
	v_ashrrev_i32_e32 v21, 31, v7
	v_lshlrev_b32_e32 v31, 27, v33
	v_cmp_gt_i64_e64 s[4:5], 0, v[26:27]
	v_not_b32_e32 v22, v29
	v_ashrrev_i32_e32 v19, 31, v19
	v_and_b32_e32 v18, exec_hi, v18
	v_and_b32_e32 v20, exec_lo, v20
	v_xor_b32_e32 v24, s1, v21
	v_xor_b32_e32 v21, s0, v21
	v_not_b32_e32 v23, v31
	v_ashrrev_i32_e32 v22, 31, v22
	v_xor_b32_e32 v25, s5, v19
	v_xor_b32_e32 v19, s4, v19
	v_and_b32_e32 v18, v18, v24
	v_and_b32_e32 v20, v20, v21
	v_cmp_gt_i64_e64 s[8:9], 0, v[30:31]
	v_ashrrev_i32_e32 v23, 31, v23
	v_xor_b32_e32 v26, s7, v22
	v_xor_b32_e32 v22, s6, v22
	v_and_b32_e32 v18, v18, v25
	v_and_b32_e32 v19, v20, v19
	v_xor_b32_e32 v27, s9, v23
	v_xor_b32_e32 v23, s8, v23
	v_and_b32_e32 v18, v18, v26
	v_and_b32_e32 v19, v19, v22
	;; [unrolled: 1-line block ×4, first 2 shown]
	v_lshlrev_b32_e32 v19, 26, v33
	v_mov_b32_e32 v18, v5
	v_cmp_gt_i64_e32 vcc, 0, v[18:19]
	v_not_b32_e32 v18, v19
	v_ashrrev_i32_e32 v18, 31, v18
	v_xor_b32_e32 v19, vcc_hi, v18
	v_xor_b32_e32 v18, vcc_lo, v18
	v_and_b32_e32 v20, v20, v19
	v_and_b32_e32 v21, v21, v18
	v_lshlrev_b32_e32 v19, 25, v33
	v_mov_b32_e32 v18, v5
	v_cmp_gt_i64_e32 vcc, 0, v[18:19]
	v_not_b32_e32 v18, v19
	v_ashrrev_i32_e32 v18, 31, v18
	v_xor_b32_e32 v19, vcc_hi, v18
	v_xor_b32_e32 v18, vcc_lo, v18
	v_and_b32_e32 v20, v20, v19
	v_and_b32_e32 v21, v21, v18
	;; [unrolled: 9-line block ×3, first 2 shown]
	v_mbcnt_lo_u32_b32 v20, v18, 0
	v_mbcnt_hi_u32_b32 v22, v19, v20
	v_lshl_add_u32 v34, v33, 4, v33
	v_cmp_eq_u32_e32 vcc, 0, v22
	v_cmp_ne_u64_e64 s[0:1], 0, v[18:19]
	v_add_lshl_u32 v7, v28, v34, 2
	s_and_b64 s[4:5], s[0:1], vcc
	s_and_saveexec_b64 s[0:1], s[4:5]
	s_cbranch_execz .LBB15_89
; %bb.88:
	v_bcnt_u32_b32 v18, v18, 0
	v_bcnt_u32_b32 v18, v19, v18
	ds_write_b32 v7, v18 offset:64
.LBB15_89:
	s_or_b64 exec, exec, s[0:1]
	s_waitcnt vmcnt(4)
	v_xor_b32_e32 v9, 0x7fffffff, v9
	v_not_b32_e32 v8, v8
	v_lshrrev_b64 v[18:19], s44, v[8:9]
	v_and_b32_e32 v25, s14, v18
	v_lshl_add_u32 v18, v25, 4, v25
	v_add_lshl_u32 v24, v28, v18, 2
	v_and_b32_e32 v18, 1, v25
	v_mov_b32_e32 v19, v5
	v_lshl_add_u64 v[20:21], v[18:19], 0, -1
	v_cmp_ne_u32_e32 vcc, 0, v18
	; wave barrier
	s_nop 1
	v_xor_b32_e32 v18, vcc_hi, v21
	v_xor_b32_e32 v19, vcc_lo, v20
	v_and_b32_e32 v20, exec_hi, v18
	v_and_b32_e32 v21, exec_lo, v19
	v_lshlrev_b32_e32 v19, 30, v25
	v_mov_b32_e32 v18, v5
	v_cmp_gt_i64_e32 vcc, 0, v[18:19]
	v_not_b32_e32 v18, v19
	v_ashrrev_i32_e32 v18, 31, v18
	v_xor_b32_e32 v19, vcc_hi, v18
	v_xor_b32_e32 v18, vcc_lo, v18
	v_and_b32_e32 v20, v20, v19
	v_and_b32_e32 v21, v21, v18
	v_lshlrev_b32_e32 v19, 29, v25
	v_mov_b32_e32 v18, v5
	v_cmp_gt_i64_e32 vcc, 0, v[18:19]
	v_not_b32_e32 v18, v19
	v_ashrrev_i32_e32 v18, 31, v18
	v_xor_b32_e32 v19, vcc_hi, v18
	v_xor_b32_e32 v18, vcc_lo, v18
	v_and_b32_e32 v20, v20, v19
	v_and_b32_e32 v21, v21, v18
	;; [unrolled: 9-line block ×6, first 2 shown]
	v_lshlrev_b32_e32 v19, 24, v25
	v_mov_b32_e32 v18, v5
	v_cmp_gt_i64_e32 vcc, 0, v[18:19]
	v_not_b32_e32 v18, v19
	v_ashrrev_i32_e32 v18, 31, v18
	v_xor_b32_e32 v19, vcc_hi, v18
	v_xor_b32_e32 v18, vcc_lo, v18
	ds_read_b32 v23, v24 offset:64
	v_and_b32_e32 v18, v21, v18
	v_and_b32_e32 v19, v20, v19
	v_mbcnt_lo_u32_b32 v20, v18, 0
	v_mbcnt_hi_u32_b32 v25, v19, v20
	v_cmp_eq_u32_e32 vcc, 0, v25
	v_cmp_ne_u64_e64 s[0:1], 0, v[18:19]
	s_and_b64 s[4:5], s[0:1], vcc
	; wave barrier
	s_and_saveexec_b64 s[0:1], s[4:5]
	s_cbranch_execz .LBB15_91
; %bb.90:
	v_bcnt_u32_b32 v18, v18, 0
	v_bcnt_u32_b32 v18, v19, v18
	s_waitcnt lgkmcnt(0)
	v_add_u32_e32 v18, v23, v18
	ds_write_b32 v24, v18 offset:64
.LBB15_91:
	s_or_b64 exec, exec, s[0:1]
	s_waitcnt vmcnt(3)
	v_xor_b32_e32 v11, 0x7fffffff, v11
	v_not_b32_e32 v10, v10
	v_lshrrev_b64 v[18:19], s44, v[10:11]
	v_and_b32_e32 v29, s14, v18
	v_lshl_add_u32 v18, v29, 4, v29
	v_add_lshl_u32 v27, v28, v18, 2
	v_and_b32_e32 v18, 1, v29
	v_mov_b32_e32 v19, 0
	v_lshl_add_u64 v[20:21], v[18:19], 0, -1
	v_cmp_ne_u32_e32 vcc, 0, v18
	; wave barrier
	s_nop 1
	v_xor_b32_e32 v20, vcc_lo, v20
	v_xor_b32_e32 v18, vcc_hi, v21
	v_and_b32_e32 v30, exec_lo, v20
	v_lshlrev_b32_e32 v21, 30, v29
	v_mov_b32_e32 v20, v19
	v_cmp_gt_i64_e32 vcc, 0, v[20:21]
	v_not_b32_e32 v20, v21
	v_ashrrev_i32_e32 v20, 31, v20
	v_and_b32_e32 v18, exec_hi, v18
	v_xor_b32_e32 v21, vcc_hi, v20
	v_xor_b32_e32 v20, vcc_lo, v20
	v_and_b32_e32 v18, v18, v21
	v_and_b32_e32 v30, v30, v20
	v_lshlrev_b32_e32 v21, 29, v29
	v_mov_b32_e32 v20, v19
	v_cmp_gt_i64_e32 vcc, 0, v[20:21]
	v_not_b32_e32 v20, v21
	v_ashrrev_i32_e32 v20, 31, v20
	v_xor_b32_e32 v21, vcc_hi, v20
	v_xor_b32_e32 v20, vcc_lo, v20
	v_and_b32_e32 v18, v18, v21
	v_and_b32_e32 v30, v30, v20
	v_lshlrev_b32_e32 v21, 28, v29
	v_mov_b32_e32 v20, v19
	v_cmp_gt_i64_e32 vcc, 0, v[20:21]
	v_not_b32_e32 v20, v21
	v_ashrrev_i32_e32 v20, 31, v20
	;; [unrolled: 9-line block ×6, first 2 shown]
	v_xor_b32_e32 v21, vcc_hi, v20
	v_xor_b32_e32 v20, vcc_lo, v20
	ds_read_b32 v26, v27 offset:64
	v_and_b32_e32 v20, v30, v20
	v_and_b32_e32 v21, v18, v21
	v_mbcnt_lo_u32_b32 v18, v20, 0
	v_mbcnt_hi_u32_b32 v29, v21, v18
	v_cmp_eq_u32_e32 vcc, 0, v29
	v_cmp_ne_u64_e64 s[0:1], 0, v[20:21]
	s_and_b64 s[4:5], s[0:1], vcc
	; wave barrier
	s_and_saveexec_b64 s[0:1], s[4:5]
	s_cbranch_execz .LBB15_93
; %bb.92:
	v_bcnt_u32_b32 v18, v20, 0
	v_bcnt_u32_b32 v18, v21, v18
	s_waitcnt lgkmcnt(0)
	v_add_u32_e32 v18, v26, v18
	ds_write_b32 v27, v18 offset:64
.LBB15_93:
	s_or_b64 exec, exec, s[0:1]
	s_waitcnt vmcnt(2)
	v_xor_b32_e32 v15, 0x7fffffff, v15
	v_not_b32_e32 v14, v14
	v_lshrrev_b64 v[20:21], s44, v[14:15]
	v_and_b32_e32 v32, s14, v20
	v_lshl_add_u32 v18, v32, 4, v32
	v_add_lshl_u32 v31, v28, v18, 2
	v_and_b32_e32 v18, 1, v32
	v_lshl_add_u64 v[20:21], v[18:19], 0, -1
	v_cmp_ne_u32_e32 vcc, 0, v18
	; wave barrier
	s_nop 1
	v_xor_b32_e32 v20, vcc_lo, v20
	v_xor_b32_e32 v18, vcc_hi, v21
	v_and_b32_e32 v33, exec_lo, v20
	v_lshlrev_b32_e32 v21, 30, v32
	v_mov_b32_e32 v20, v19
	v_cmp_gt_i64_e32 vcc, 0, v[20:21]
	v_not_b32_e32 v20, v21
	v_ashrrev_i32_e32 v20, 31, v20
	v_and_b32_e32 v18, exec_hi, v18
	v_xor_b32_e32 v21, vcc_hi, v20
	v_xor_b32_e32 v20, vcc_lo, v20
	v_and_b32_e32 v18, v18, v21
	v_and_b32_e32 v33, v33, v20
	v_lshlrev_b32_e32 v21, 29, v32
	v_mov_b32_e32 v20, v19
	v_cmp_gt_i64_e32 vcc, 0, v[20:21]
	v_not_b32_e32 v20, v21
	v_ashrrev_i32_e32 v20, 31, v20
	v_xor_b32_e32 v21, vcc_hi, v20
	v_xor_b32_e32 v20, vcc_lo, v20
	v_and_b32_e32 v18, v18, v21
	v_and_b32_e32 v33, v33, v20
	v_lshlrev_b32_e32 v21, 28, v32
	v_mov_b32_e32 v20, v19
	v_cmp_gt_i64_e32 vcc, 0, v[20:21]
	v_not_b32_e32 v20, v21
	v_ashrrev_i32_e32 v20, 31, v20
	;; [unrolled: 9-line block ×5, first 2 shown]
	v_xor_b32_e32 v21, vcc_hi, v20
	v_xor_b32_e32 v20, vcc_lo, v20
	v_and_b32_e32 v18, v18, v21
	v_lshlrev_b32_e32 v21, 24, v32
	v_and_b32_e32 v33, v33, v20
	v_mov_b32_e32 v20, v19
	v_not_b32_e32 v19, v21
	v_cmp_gt_i64_e32 vcc, 0, v[20:21]
	v_ashrrev_i32_e32 v19, 31, v19
	ds_read_b32 v30, v31 offset:64
	v_xor_b32_e32 v20, vcc_hi, v19
	v_xor_b32_e32 v21, vcc_lo, v19
	v_and_b32_e32 v19, v18, v20
	v_and_b32_e32 v18, v33, v21
	v_mbcnt_lo_u32_b32 v20, v18, 0
	v_mbcnt_hi_u32_b32 v32, v19, v20
	v_cmp_eq_u32_e32 vcc, 0, v32
	v_cmp_ne_u64_e64 s[0:1], 0, v[18:19]
	s_and_b64 s[4:5], s[0:1], vcc
	; wave barrier
	s_and_saveexec_b64 s[0:1], s[4:5]
	s_cbranch_execz .LBB15_95
; %bb.94:
	v_bcnt_u32_b32 v18, v18, 0
	v_bcnt_u32_b32 v18, v19, v18
	s_waitcnt lgkmcnt(0)
	v_add_u32_e32 v18, v30, v18
	ds_write_b32 v31, v18 offset:64
.LBB15_95:
	s_or_b64 exec, exec, s[0:1]
	s_waitcnt vmcnt(1)
	v_xor_b32_e32 v19, 0x7fffffff, v17
	v_not_b32_e32 v18, v16
	v_lshrrev_b64 v[16:17], s44, v[18:19]
	v_and_b32_e32 v35, s14, v16
	v_lshl_add_u32 v16, v35, 4, v35
	v_add_lshl_u32 v34, v28, v16, 2
	v_and_b32_e32 v16, 1, v35
	v_mov_b32_e32 v17, 0
	v_lshl_add_u64 v[20:21], v[16:17], 0, -1
	v_cmp_ne_u32_e32 vcc, 0, v16
	; wave barrier
	s_nop 1
	v_xor_b32_e32 v20, vcc_lo, v20
	v_xor_b32_e32 v16, vcc_hi, v21
	v_and_b32_e32 v36, exec_lo, v20
	v_lshlrev_b32_e32 v21, 30, v35
	v_mov_b32_e32 v20, v17
	v_cmp_gt_i64_e32 vcc, 0, v[20:21]
	v_not_b32_e32 v20, v21
	v_ashrrev_i32_e32 v20, 31, v20
	v_and_b32_e32 v16, exec_hi, v16
	v_xor_b32_e32 v21, vcc_hi, v20
	v_xor_b32_e32 v20, vcc_lo, v20
	v_and_b32_e32 v16, v16, v21
	v_and_b32_e32 v36, v36, v20
	v_lshlrev_b32_e32 v21, 29, v35
	v_mov_b32_e32 v20, v17
	v_cmp_gt_i64_e32 vcc, 0, v[20:21]
	v_not_b32_e32 v20, v21
	v_ashrrev_i32_e32 v20, 31, v20
	v_xor_b32_e32 v21, vcc_hi, v20
	v_xor_b32_e32 v20, vcc_lo, v20
	v_and_b32_e32 v16, v16, v21
	v_and_b32_e32 v36, v36, v20
	v_lshlrev_b32_e32 v21, 28, v35
	v_mov_b32_e32 v20, v17
	v_cmp_gt_i64_e32 vcc, 0, v[20:21]
	v_not_b32_e32 v20, v21
	v_ashrrev_i32_e32 v20, 31, v20
	;; [unrolled: 9-line block ×6, first 2 shown]
	v_xor_b32_e32 v21, vcc_hi, v20
	v_xor_b32_e32 v20, vcc_lo, v20
	ds_read_b32 v33, v34 offset:64
	v_and_b32_e32 v20, v36, v20
	v_and_b32_e32 v21, v16, v21
	v_mbcnt_lo_u32_b32 v16, v20, 0
	v_mbcnt_hi_u32_b32 v35, v21, v16
	v_cmp_eq_u32_e32 vcc, 0, v35
	v_cmp_ne_u64_e64 s[0:1], 0, v[20:21]
	s_and_b64 s[4:5], s[0:1], vcc
	; wave barrier
	s_and_saveexec_b64 s[0:1], s[4:5]
	s_cbranch_execz .LBB15_97
; %bb.96:
	v_bcnt_u32_b32 v16, v20, 0
	v_bcnt_u32_b32 v16, v21, v16
	s_waitcnt lgkmcnt(0)
	v_add_u32_e32 v16, v33, v16
	ds_write_b32 v34, v16 offset:64
.LBB15_97:
	s_or_b64 exec, exec, s[0:1]
	s_waitcnt vmcnt(0)
	v_xor_b32_e32 v21, 0x7fffffff, v13
	v_not_b32_e32 v20, v12
	v_lshrrev_b64 v[12:13], s44, v[20:21]
	v_and_b32_e32 v38, s14, v12
	v_lshl_add_u32 v12, v38, 4, v38
	v_and_b32_e32 v16, 1, v38
	v_add_lshl_u32 v37, v28, v12, 2
	v_lshl_add_u64 v[12:13], v[16:17], 0, -1
	v_cmp_ne_u32_e32 vcc, 0, v16
	; wave barrier
	s_nop 1
	v_xor_b32_e32 v13, vcc_hi, v13
	v_xor_b32_e32 v12, vcc_lo, v12
	v_and_b32_e32 v16, exec_hi, v13
	v_and_b32_e32 v39, exec_lo, v12
	v_lshlrev_b32_e32 v13, 30, v38
	v_mov_b32_e32 v12, v17
	v_cmp_gt_i64_e32 vcc, 0, v[12:13]
	v_not_b32_e32 v12, v13
	v_ashrrev_i32_e32 v12, 31, v12
	v_xor_b32_e32 v13, vcc_hi, v12
	v_xor_b32_e32 v12, vcc_lo, v12
	v_and_b32_e32 v16, v16, v13
	v_and_b32_e32 v39, v39, v12
	v_lshlrev_b32_e32 v13, 29, v38
	v_mov_b32_e32 v12, v17
	v_cmp_gt_i64_e32 vcc, 0, v[12:13]
	v_not_b32_e32 v12, v13
	v_ashrrev_i32_e32 v12, 31, v12
	v_xor_b32_e32 v13, vcc_hi, v12
	v_xor_b32_e32 v12, vcc_lo, v12
	v_and_b32_e32 v16, v16, v13
	v_and_b32_e32 v39, v39, v12
	;; [unrolled: 9-line block ×6, first 2 shown]
	v_lshlrev_b32_e32 v13, 24, v38
	v_mov_b32_e32 v12, v17
	v_cmp_gt_i64_e32 vcc, 0, v[12:13]
	v_not_b32_e32 v12, v13
	v_ashrrev_i32_e32 v12, 31, v12
	v_xor_b32_e32 v13, vcc_hi, v12
	v_xor_b32_e32 v12, vcc_lo, v12
	ds_read_b32 v28, v37 offset:64
	v_and_b32_e32 v12, v39, v12
	v_and_b32_e32 v13, v16, v13
	v_mbcnt_lo_u32_b32 v16, v12, 0
	v_mbcnt_hi_u32_b32 v38, v13, v16
	v_cmp_eq_u32_e32 vcc, 0, v38
	v_cmp_ne_u64_e64 s[0:1], 0, v[12:13]
	v_add_u32_e32 v36, 64, v3
	s_and_b64 s[4:5], s[0:1], vcc
	; wave barrier
	s_and_saveexec_b64 s[0:1], s[4:5]
	s_cbranch_execz .LBB15_99
; %bb.98:
	v_bcnt_u32_b32 v12, v12, 0
	v_bcnt_u32_b32 v12, v13, v12
	s_waitcnt lgkmcnt(0)
	v_add_u32_e32 v12, v28, v12
	ds_write_b32 v37, v12 offset:64
.LBB15_99:
	s_or_b64 exec, exec, s[0:1]
	; wave barrier
	s_waitcnt lgkmcnt(0)
	s_barrier
	ds_read2_b32 v[16:17], v3 offset0:16 offset1:17
	ds_read2_b32 v[12:13], v36 offset0:2 offset1:3
	ds_read_b32 v39, v36 offset:16
	v_cmp_lt_u32_e64 s[8:9], 31, v4
	s_waitcnt lgkmcnt(1)
	v_add3_u32 v40, v17, v16, v12
	s_waitcnt lgkmcnt(0)
	v_add3_u32 v39, v40, v13, v39
	v_and_b32_e32 v40, 15, v4
	v_cmp_eq_u32_e32 vcc, 0, v40
	v_mov_b32_dpp v41, v39 row_shr:1 row_mask:0xf bank_mask:0xf
	v_cmp_lt_u32_e64 s[0:1], 1, v40
	v_cndmask_b32_e64 v41, v41, 0, vcc
	v_add_u32_e32 v39, v41, v39
	v_cmp_lt_u32_e64 s[6:7], 3, v40
	v_cmp_lt_u32_e64 s[4:5], 7, v40
	v_mov_b32_dpp v41, v39 row_shr:2 row_mask:0xf bank_mask:0xf
	v_cndmask_b32_e64 v41, 0, v41, s[0:1]
	v_add_u32_e32 v39, v39, v41
	s_nop 1
	v_mov_b32_dpp v41, v39 row_shr:4 row_mask:0xf bank_mask:0xf
	v_cndmask_b32_e64 v41, 0, v41, s[6:7]
	v_add_u32_e32 v39, v39, v41
	s_nop 1
	v_mov_b32_dpp v41, v39 row_shr:8 row_mask:0xf bank_mask:0xf
	v_cndmask_b32_e64 v40, 0, v41, s[4:5]
	v_add_u32_e32 v39, v39, v40
	v_bfe_i32 v41, v4, 4, 1
	s_nop 0
	v_mov_b32_dpp v40, v39 row_bcast:15 row_mask:0xf bank_mask:0xf
	v_and_b32_e32 v40, v41, v40
	v_add_u32_e32 v39, v39, v40
	v_and_b32_e32 v41, 63, v2
	s_nop 0
	v_mov_b32_dpp v40, v39 row_bcast:31 row_mask:0xf bank_mask:0xf
	v_cndmask_b32_e64 v40, 0, v40, s[8:9]
	v_add_u32_e32 v39, v39, v40
	v_lshrrev_b32_e32 v40, 6, v2
	v_cmp_eq_u32_e64 s[8:9], 63, v41
	s_and_saveexec_b64 s[12:13], s[8:9]
	s_cbranch_execz .LBB15_101
; %bb.100:
	v_lshlrev_b32_e32 v41, 2, v40
	ds_write_b32 v41, v39
.LBB15_101:
	s_or_b64 exec, exec, s[12:13]
	v_cmp_gt_u32_e64 s[8:9], 16, v2
	s_waitcnt lgkmcnt(0)
	s_barrier
	s_and_saveexec_b64 s[12:13], s[8:9]
	s_cbranch_execz .LBB15_103
; %bb.102:
	v_lshlrev_b32_e32 v41, 2, v2
	ds_read_b32 v42, v41
	s_waitcnt lgkmcnt(0)
	s_nop 0
	v_mov_b32_dpp v43, v42 row_shr:1 row_mask:0xf bank_mask:0xf
	v_cndmask_b32_e64 v43, v43, 0, vcc
	v_add_u32_e32 v42, v43, v42
	s_nop 1
	v_mov_b32_dpp v43, v42 row_shr:2 row_mask:0xf bank_mask:0xf
	v_cndmask_b32_e64 v43, 0, v43, s[0:1]
	v_add_u32_e32 v42, v42, v43
	s_nop 1
	v_mov_b32_dpp v43, v42 row_shr:4 row_mask:0xf bank_mask:0xf
	v_cndmask_b32_e64 v43, 0, v43, s[6:7]
	;; [unrolled: 4-line block ×3, first 2 shown]
	v_add_u32_e32 v42, v42, v43
	ds_write_b32 v41, v42
.LBB15_103:
	s_or_b64 exec, exec, s[12:13]
	v_cmp_lt_u32_e32 vcc, 63, v2
	v_mov_b32_e32 v41, 0
	s_waitcnt lgkmcnt(0)
	s_barrier
	s_and_saveexec_b64 s[0:1], vcc
	s_cbranch_execz .LBB15_105
; %bb.104:
	v_lshl_add_u32 v40, v40, 2, -4
	ds_read_b32 v41, v40
.LBB15_105:
	s_or_b64 exec, exec, s[0:1]
	v_add_u32_e32 v40, -1, v4
	v_and_b32_e32 v42, 64, v4
	v_cmp_lt_i32_e32 vcc, v40, v42
	s_waitcnt lgkmcnt(0)
	v_add_u32_e32 v39, v41, v39
	s_movk_i32 s4, 0xff
	v_cndmask_b32_e32 v40, v40, v4, vcc
	v_lshlrev_b32_e32 v40, 2, v40
	ds_bpermute_b32 v39, v40, v39
	v_cmp_eq_u32_e32 vcc, 0, v4
	s_movk_i32 s5, 0x100
	v_cmp_lt_u32_e64 s[0:1], s4, v2
	s_waitcnt lgkmcnt(0)
	v_cndmask_b32_e32 v39, v39, v41, vcc
	v_cmp_ne_u32_e32 vcc, 0, v2
	s_nop 1
	v_cndmask_b32_e32 v39, 0, v39, vcc
	v_add_u32_e32 v16, v39, v16
	v_add_u32_e32 v17, v16, v17
	;; [unrolled: 1-line block ×4, first 2 shown]
	ds_write2_b32 v3, v39, v16 offset0:16 offset1:17
	ds_write2_b32 v36, v17, v12 offset0:2 offset1:3
	ds_write_b32 v36, v13 offset:16
	s_waitcnt lgkmcnt(0)
	s_barrier
	ds_read_b32 v3, v7 offset:64
	ds_read_b32 v24, v24 offset:64
	;; [unrolled: 1-line block ×6, first 2 shown]
	v_cmp_gt_u32_e32 vcc, s5, v2
	v_mov_b64_e32 v[12:13], 0
                                        ; implicit-def: $vgpr16
	s_and_saveexec_b64 s[6:7], vcc
	s_cbranch_execz .LBB15_109
; %bb.106:
	v_mul_u32_u24_e32 v7, 17, v2
	v_lshlrev_b32_e32 v13, 2, v7
	ds_read_b32 v12, v13 offset:64
	v_cmp_ne_u32_e64 s[4:5], s4, v2
	v_mov_b32_e32 v7, 0x1800
	s_and_saveexec_b64 s[8:9], s[4:5]
	s_cbranch_execz .LBB15_108
; %bb.107:
	ds_read_b32 v7, v13 offset:132
.LBB15_108:
	s_or_b64 exec, exec, s[8:9]
	s_waitcnt lgkmcnt(0)
	v_sub_u32_e32 v16, v7, v12
	v_mov_b32_e32 v13, 0
.LBB15_109:
	s_or_b64 exec, exec, s[6:7]
	s_waitcnt lgkmcnt(5)
	v_add_u32_e32 v17, v3, v22
	s_waitcnt lgkmcnt(4)
	v_add3_u32 v22, v25, v23, v24
	v_lshlrev_b32_e32 v3, 3, v17
	s_waitcnt lgkmcnt(3)
	v_add3_u32 v23, v29, v26, v27
	s_waitcnt lgkmcnt(0)
	s_barrier
	ds_write_b64 v3, v[0:1] offset:2048
	v_lshlrev_b32_e32 v0, 3, v22
	v_add3_u32 v24, v32, v30, v31
	ds_write_b64 v0, v[8:9] offset:2048
	v_lshlrev_b32_e32 v0, 3, v23
	v_add3_u32 v25, v35, v33, v34
	;; [unrolled: 3-line block ×3, first 2 shown]
	ds_write_b64 v0, v[14:15] offset:2048
	v_lshlrev_b32_e32 v0, 3, v25
	v_mov_b32_e32 v7, v5
	ds_write_b64 v0, v[18:19] offset:2048
	v_lshlrev_b32_e32 v0, 3, v26
	ds_write_b64 v0, v[20:21] offset:2048
	s_waitcnt lgkmcnt(0)
	s_barrier
	s_and_saveexec_b64 s[4:5], s[0:1]
	s_xor_b64 s[0:1], exec, s[4:5]
; %bb.110:
	v_mov_b32_e32 v3, 0
; %bb.111:
	s_andn2_saveexec_b64 s[4:5], s[0:1]
	s_cbranch_execz .LBB15_121
; %bb.112:
	v_lshl_or_b32 v8, s2, 8, v2
	v_mov_b32_e32 v9, 0
	v_lshl_add_u64 v[0:1], v[8:9], 2, s[48:49]
	v_or_b32_e32 v3, 2.0, v16
	s_mov_b64 s[6:7], 0
	s_brev_b32 s15, 1
	s_mov_b32 s16, s2
	v_mov_b32_e32 v14, 0
	global_store_dword v[0:1], v3, off sc1
                                        ; implicit-def: $sgpr0_sgpr1
	s_branch .LBB15_115
.LBB15_113:                             ;   in Loop: Header=BB15_115 Depth=1
	s_or_b64 exec, exec, s[12:13]
.LBB15_114:                             ;   in Loop: Header=BB15_115 Depth=1
	s_or_b64 exec, exec, s[8:9]
	v_and_b32_e32 v8, 0x3fffffff, v8
	v_add_u32_e32 v14, v8, v14
	v_cmp_eq_u32_e64 s[0:1], s15, v3
	s_and_b64 s[8:9], exec, s[0:1]
	s_or_b64 s[6:7], s[8:9], s[6:7]
	s_andn2_b64 exec, exec, s[6:7]
	s_cbranch_execz .LBB15_120
.LBB15_115:                             ; =>This Loop Header: Depth=1
                                        ;     Child Loop BB15_118 Depth 2
	s_or_b64 s[0:1], s[0:1], exec
	s_cmp_eq_u32 s16, 0
	s_cbranch_scc1 .LBB15_119
; %bb.116:                              ;   in Loop: Header=BB15_115 Depth=1
	s_add_i32 s16, s16, -1
	v_lshl_or_b32 v8, s16, 8, v2
	v_lshl_add_u64 v[10:11], v[8:9], 2, s[48:49]
	global_load_dword v8, v[10:11], off sc1
	s_waitcnt vmcnt(0)
	v_and_b32_e32 v3, -2.0, v8
	v_cmp_eq_u32_e64 s[0:1], 0, v3
	s_and_saveexec_b64 s[8:9], s[0:1]
	s_cbranch_execz .LBB15_114
; %bb.117:                              ;   in Loop: Header=BB15_115 Depth=1
	s_mov_b64 s[12:13], 0
.LBB15_118:                             ;   Parent Loop BB15_115 Depth=1
                                        ; =>  This Inner Loop Header: Depth=2
	global_load_dword v8, v[10:11], off sc1
	s_waitcnt vmcnt(0)
	v_and_b32_e32 v3, -2.0, v8
	v_cmp_ne_u32_e64 s[0:1], 0, v3
	s_or_b64 s[12:13], s[0:1], s[12:13]
	s_andn2_b64 exec, exec, s[12:13]
	s_cbranch_execnz .LBB15_118
	s_branch .LBB15_113
.LBB15_119:                             ;   in Loop: Header=BB15_115 Depth=1
                                        ; implicit-def: $sgpr16
	s_and_b64 s[8:9], exec, s[0:1]
	s_or_b64 s[6:7], s[8:9], s[6:7]
	s_andn2_b64 exec, exec, s[6:7]
	s_cbranch_execnz .LBB15_115
.LBB15_120:
	s_or_b64 exec, exec, s[6:7]
	v_add_u32_e32 v3, v14, v16
	v_or_b32_e32 v3, 0x80000000, v3
	global_store_dword v[0:1], v3, off sc1
	v_lshlrev_b32_e32 v10, 3, v2
	global_load_dwordx2 v[0:1], v10, s[28:29]
	v_sub_co_u32_e64 v8, s[0:1], v14, v12
	v_mov_b32_e32 v3, 0
	s_nop 0
	v_subb_co_u32_e64 v9, s[0:1], 0, v13, s[0:1]
	s_waitcnt vmcnt(0)
	v_lshl_add_u64 v[0:1], v[8:9], 0, v[0:1]
	ds_write_b64 v10, v[0:1]
.LBB15_121:
	s_or_b64 exec, exec, s[4:5]
	v_lshlrev_b32_e32 v27, 3, v2
	s_waitcnt lgkmcnt(0)
	s_barrier
	ds_read2st64_b64 v[8:11], v27 offset0:20 offset1:36
	v_lshlrev_b32_e32 v0, 3, v2
	ds_read2st64_b64 v[18:21], v27 offset0:52 offset1:68
	ds_read_b64 v[0:1], v0 offset:2048
	s_add_u32 s0, s40, s34
	s_addc_u32 s1, s41, 0
	s_waitcnt lgkmcnt(2)
	v_lshrrev_b64 v[14:15], s44, v[10:11]
	v_and_b32_e32 v14, s14, v14
	v_lshlrev_b32_e32 v40, 3, v14
	s_waitcnt lgkmcnt(1)
	v_lshrrev_b64 v[14:15], s44, v[20:21]
	v_and_b32_e32 v14, s14, v14
	v_lshlrev_b32_e32 v41, 3, v14
	s_waitcnt lgkmcnt(0)
	v_lshrrev_b64 v[32:33], s44, v[0:1]
	ds_read_b64 v[14:15], v41
	ds_read_b64 v[28:29], v40
	ds_read_b64 v[30:31], v27 offset:43008
	v_and_b32_e32 v32, s14, v32
	v_lshlrev_b32_e32 v42, 3, v32
	v_lshrrev_b64 v[32:33], s44, v[8:9]
	v_and_b32_e32 v32, s14, v32
	v_lshlrev_b32_e32 v43, 3, v32
	v_lshrrev_b64 v[32:33], s44, v[18:19]
	v_and_b32_e32 v32, s14, v32
	v_lshlrev_b32_e32 v44, 3, v32
	s_waitcnt lgkmcnt(0)
	v_lshrrev_b64 v[32:33], s44, v[30:31]
	v_and_b32_e32 v34, s14, v32
	ds_read_b64 v[32:33], v42
	v_lshlrev_b32_e32 v45, 3, v34
	ds_read_b64 v[34:35], v43
	ds_read_b64 v[36:37], v44
	;; [unrolled: 1-line block ×3, first 2 shown]
	v_xor_b32_e32 v1, 0x7fffffff, v1
	v_xor_b32_e32 v0, -1, v0
	s_waitcnt lgkmcnt(3)
	v_lshl_add_u64 v[32:33], v[32:33], 3, s[38:39]
	v_lshl_add_u64 v[32:33], v[2:3], 3, v[32:33]
	global_store_dwordx2 v[32:33], v[0:1], off
	s_waitcnt lgkmcnt(2)
	v_lshl_add_u64 v[32:33], v[34:35], 3, s[38:39]
	v_or_b32_e32 v0, 0x2000, v27
	v_mov_b32_e32 v1, 0
	v_xor_b32_e32 v9, 0x7fffffff, v9
	v_xor_b32_e32 v8, -1, v8
	v_lshl_add_u64 v[32:33], v[32:33], 0, v[0:1]
	global_store_dwordx2 v[32:33], v[8:9], off
	v_xor_b32_e32 v9, 0x7fffffff, v11
	v_xor_b32_e32 v8, -1, v10
	v_lshl_add_u64 v[10:11], v[28:29], 3, s[38:39]
	v_or_b32_e32 v0, 0x4000, v27
	v_lshl_add_u64 v[10:11], v[10:11], 0, v[0:1]
	global_store_dwordx2 v[10:11], v[8:9], off
	s_waitcnt lgkmcnt(1)
	v_lshl_add_u64 v[10:11], v[36:37], 3, s[38:39]
	v_or_b32_e32 v0, 0x6000, v27
	v_xor_b32_e32 v9, 0x7fffffff, v19
	v_xor_b32_e32 v8, -1, v18
	v_lshl_add_u64 v[10:11], v[10:11], 0, v[0:1]
	v_or_b32_e32 v0, 0x1000, v2
	global_store_dwordx2 v[10:11], v[8:9], off
	v_lshl_add_u64 v[10:11], v[14:15], 3, s[38:39]
	v_lshlrev_b32_e32 v14, 3, v0
	v_mov_b32_e32 v15, v1
	v_xor_b32_e32 v9, 0x7fffffff, v21
	v_xor_b32_e32 v8, -1, v20
	v_lshl_add_u64 v[10:11], v[10:11], 0, v[14:15]
	global_store_dwordx2 v[10:11], v[8:9], off
	v_or_b32_e32 v8, 0x1400, v2
	s_waitcnt lgkmcnt(0)
	v_lshl_add_u64 v[14:15], v[38:39], 3, s[38:39]
	v_lshlrev_b32_e32 v18, 3, v8
	v_mov_b32_e32 v19, v1
	v_xor_b32_e32 v11, 0x7fffffff, v31
	v_xor_b32_e32 v10, -1, v30
	v_lshl_add_u64 v[14:15], v[14:15], 0, v[18:19]
	v_lshl_add_u64 v[4:5], s[0:1], 0, v[4:5]
	global_store_dwordx2 v[14:15], v[10:11], off
	v_lshl_add_u64 v[4:5], v[4:5], 0, v[6:7]
	global_load_ubyte v6, v[4:5], off
	global_load_ubyte v7, v[4:5], off offset:64
	global_load_ubyte v10, v[4:5], off offset:128
	global_load_ubyte v11, v[4:5], off offset:192
	global_load_ubyte v14, v[4:5], off offset:256
	global_load_ubyte v15, v[4:5], off offset:320
	s_barrier
	s_add_i32 s3, s3, -1
	s_cmp_eq_u32 s2, s3
	v_mov_b32_e32 v9, v1
	s_cselect_b64 s[0:1], -1, 0
	s_and_b64 s[2:3], vcc, s[0:1]
	s_waitcnt vmcnt(5)
	ds_write_b8 v17, v6 offset:2048
	s_waitcnt vmcnt(4)
	ds_write_b8 v22, v7 offset:2048
	;; [unrolled: 2-line block ×6, first 2 shown]
	s_waitcnt lgkmcnt(0)
	s_barrier
	ds_read_u8 v17, v2 offset:3072
	ds_read_b64 v[4:5], v42
	ds_read_b64 v[6:7], v43
	;; [unrolled: 1-line block ×5, first 2 shown]
	ds_read_u8 v22, v2 offset:2048
	ds_read_b64 v[20:21], v45
	s_waitcnt lgkmcnt(6)
	v_lshl_add_u64 v[4:5], s[42:43], 0, v[4:5]
	v_lshl_add_u64 v[4:5], v[4:5], 0, v[2:3]
	s_waitcnt lgkmcnt(5)
	v_lshl_add_u64 v[6:7], s[42:43], 0, v[6:7]
	s_waitcnt lgkmcnt(1)
	global_store_byte v[4:5], v22, off
	ds_read_u8 v4, v2 offset:4096
	v_lshl_add_u64 v[6:7], v[6:7], 0, v[2:3]
	v_lshl_add_u64 v[10:11], s[42:43], 0, v[10:11]
	global_store_byte v[6:7], v17, off offset:1024
	v_lshl_add_u64 v[10:11], v[10:11], 0, v[2:3]
	ds_read_u8 v6, v2 offset:5120
	ds_read_u8 v7, v2 offset:6144
	;; [unrolled: 1-line block ×3, first 2 shown]
	s_waitcnt lgkmcnt(3)
	global_store_byte v[10:11], v4, off offset:2048
	v_lshl_add_u64 v[4:5], s[42:43], 0, v[14:15]
	v_lshl_add_u64 v[4:5], v[4:5], 0, v[2:3]
	s_waitcnt lgkmcnt(2)
	global_store_byte v[4:5], v6, off offset:3072
	v_lshl_add_u64 v[4:5], s[42:43], 0, v[18:19]
	v_lshl_add_u64 v[4:5], v[4:5], 0, v[0:1]
	s_waitcnt lgkmcnt(1)
	global_store_byte v[4:5], v7, off
	v_lshl_add_u64 v[4:5], s[42:43], 0, v[20:21]
	v_lshl_add_u64 v[4:5], v[4:5], 0, v[8:9]
	s_waitcnt lgkmcnt(0)
	global_store_byte v[4:5], v17, off
                                        ; implicit-def: $vgpr4_vgpr5
	s_and_saveexec_b64 s[0:1], s[2:3]
; %bb.122:
	v_mov_b32_e32 v17, v1
	v_lshl_add_u64 v[4:5], v[12:13], 0, v[16:17]
	s_or_b64 s[10:11], s[10:11], exec
; %bb.123:
	s_or_b64 exec, exec, s[0:1]
.LBB15_124:
	s_and_saveexec_b64 s[0:1], s[10:11]
	s_cbranch_execnz .LBB15_126
; %bb.125:
	s_endpgm
.LBB15_126:
	v_lshlrev_b32_e32 v0, 3, v2
	ds_read_b64 v[0:1], v0
	v_mov_b32_e32 v6, s30
	v_mov_b32_e32 v7, s31
	v_lshl_add_u64 v[2:3], v[2:3], 3, v[6:7]
	s_waitcnt lgkmcnt(0)
	v_lshl_add_u64 v[0:1], v[0:1], 0, v[4:5]
	global_store_dwordx2 v[2:3], v[0:1], off
	s_endpgm
.LBB15_127:
	global_load_ubyte v6, v[4:5], off
	s_or_b64 exec, exec, s[46:47]
                                        ; implicit-def: $vgpr7
	s_and_saveexec_b64 s[46:47], s[26:27]
	s_cbranch_execz .LBB15_59
.LBB15_128:
	global_load_ubyte v7, v[4:5], off offset:64
	s_or_b64 exec, exec, s[46:47]
                                        ; implicit-def: $vgpr9
	s_and_saveexec_b64 s[26:27], s[4:5]
	s_cbranch_execz .LBB15_60
.LBB15_129:
	global_load_ubyte v9, v[4:5], off offset:128
	s_or_b64 exec, exec, s[26:27]
                                        ; implicit-def: $vgpr11
	s_and_saveexec_b64 s[4:5], s[6:7]
	s_cbranch_execz .LBB15_61
.LBB15_130:
	global_load_ubyte v11, v[4:5], off offset:192
	s_or_b64 exec, exec, s[4:5]
                                        ; implicit-def: $vgpr19
	s_and_saveexec_b64 s[4:5], s[8:9]
	s_cbranch_execz .LBB15_62
.LBB15_131:
	global_load_ubyte v19, v[4:5], off offset:256
	s_or_b64 exec, exec, s[4:5]
                                        ; implicit-def: $vgpr21
	s_and_saveexec_b64 s[4:5], s[10:11]
	s_cbranch_execnz .LBB15_63
	s_branch .LBB15_64
.LBB15_132:
	v_lshlrev_b32_e32 v3, 3, v22
	ds_read_b64 v[6:7], v3
	ds_read_u8 v8, v2 offset:2048
	v_mov_b32_e32 v3, 0
	s_waitcnt lgkmcnt(1)
	v_lshl_add_u64 v[6:7], s[42:43], 0, v[6:7]
	v_lshl_add_u64 v[6:7], v[6:7], 0, v[2:3]
	s_waitcnt lgkmcnt(0)
	global_store_byte v[6:7], v8, off
	s_or_b64 exec, exec, s[4:5]
	s_and_saveexec_b64 s[4:5], s[16:17]
	s_cbranch_execz .LBB15_78
.LBB15_133:
	v_lshlrev_b32_e32 v3, 3, v17
	ds_read_b64 v[6:7], v3
	ds_read_u8 v8, v2 offset:3072
	v_mov_b32_e32 v3, 0
	s_waitcnt lgkmcnt(1)
	v_lshl_add_u64 v[6:7], s[42:43], 0, v[6:7]
	v_lshl_add_u64 v[6:7], v[6:7], 0, v[2:3]
	s_waitcnt lgkmcnt(0)
	global_store_byte v[6:7], v8, off offset:1024
	s_or_b64 exec, exec, s[4:5]
	s_and_saveexec_b64 s[4:5], s[18:19]
	s_cbranch_execz .LBB15_79
.LBB15_134:
	v_lshlrev_b32_e32 v3, 3, v20
	ds_read_b64 v[6:7], v3
	ds_read_u8 v8, v2 offset:4096
	v_mov_b32_e32 v3, 0
	s_waitcnt lgkmcnt(1)
	v_lshl_add_u64 v[6:7], s[42:43], 0, v[6:7]
	v_lshl_add_u64 v[6:7], v[6:7], 0, v[2:3]
	s_waitcnt lgkmcnt(0)
	global_store_byte v[6:7], v8, off offset:2048
	s_or_b64 exec, exec, s[4:5]
	s_and_saveexec_b64 s[4:5], s[20:21]
	s_cbranch_execz .LBB15_80
.LBB15_135:
	v_lshlrev_b32_e32 v3, 3, v5
	ds_read_b64 v[6:7], v3
	ds_read_u8 v5, v2 offset:5120
	v_mov_b32_e32 v3, 0
	s_waitcnt lgkmcnt(1)
	v_lshl_add_u64 v[6:7], s[42:43], 0, v[6:7]
	v_lshl_add_u64 v[6:7], v[6:7], 0, v[2:3]
	s_waitcnt lgkmcnt(0)
	global_store_byte v[6:7], v5, off offset:3072
	s_or_b64 exec, exec, s[4:5]
	s_and_saveexec_b64 s[4:5], s[22:23]
	s_cbranch_execz .LBB15_81
.LBB15_136:
	v_lshlrev_b32_e32 v3, 3, v18
	ds_read_b64 v[6:7], v3
	ds_read_u8 v3, v2 offset:6144
	v_mov_b32_e32 v11, 0
	s_waitcnt lgkmcnt(1)
	v_lshl_add_u64 v[6:7], s[42:43], 0, v[6:7]
	v_lshl_add_u64 v[6:7], v[6:7], 0, v[10:11]
	s_waitcnt lgkmcnt(0)
	global_store_byte v[6:7], v3, off
	s_or_b64 exec, exec, s[4:5]
	s_and_saveexec_b64 s[4:5], s[24:25]
	s_cbranch_execnz .LBB15_82
	s_branch .LBB15_83
	.section	.rodata,"a",@progbits
	.p2align	6, 0x0
	.amdhsa_kernel _ZN7rocprim17ROCPRIM_304000_NS6detail25onesweep_iteration_kernelINS1_34wrapped_radix_sort_onesweep_configINS0_14default_configElN2at4cuda3cub6detail10OpaqueTypeILi1EEEEELb1EPlSC_PSA_SD_mNS0_19identity_decomposerEEEvT1_T2_T3_T4_jPT5_SK_PNS1_23onesweep_lookback_stateET6_jjj
		.amdhsa_group_segment_fixed_size 51200
		.amdhsa_private_segment_fixed_size 0
		.amdhsa_kernarg_size 336
		.amdhsa_user_sgpr_count 2
		.amdhsa_user_sgpr_dispatch_ptr 0
		.amdhsa_user_sgpr_queue_ptr 0
		.amdhsa_user_sgpr_kernarg_segment_ptr 1
		.amdhsa_user_sgpr_dispatch_id 0
		.amdhsa_user_sgpr_kernarg_preload_length 0
		.amdhsa_user_sgpr_kernarg_preload_offset 0
		.amdhsa_user_sgpr_private_segment_size 0
		.amdhsa_uses_dynamic_stack 0
		.amdhsa_enable_private_segment 0
		.amdhsa_system_sgpr_workgroup_id_x 1
		.amdhsa_system_sgpr_workgroup_id_y 0
		.amdhsa_system_sgpr_workgroup_id_z 0
		.amdhsa_system_sgpr_workgroup_info 0
		.amdhsa_system_vgpr_workitem_id 2
		.amdhsa_next_free_vgpr 46
		.amdhsa_next_free_sgpr 50
		.amdhsa_accum_offset 48
		.amdhsa_reserve_vcc 1
		.amdhsa_float_round_mode_32 0
		.amdhsa_float_round_mode_16_64 0
		.amdhsa_float_denorm_mode_32 3
		.amdhsa_float_denorm_mode_16_64 3
		.amdhsa_dx10_clamp 1
		.amdhsa_ieee_mode 1
		.amdhsa_fp16_overflow 0
		.amdhsa_tg_split 0
		.amdhsa_exception_fp_ieee_invalid_op 0
		.amdhsa_exception_fp_denorm_src 0
		.amdhsa_exception_fp_ieee_div_zero 0
		.amdhsa_exception_fp_ieee_overflow 0
		.amdhsa_exception_fp_ieee_underflow 0
		.amdhsa_exception_fp_ieee_inexact 0
		.amdhsa_exception_int_div_zero 0
	.end_amdhsa_kernel
	.section	.text._ZN7rocprim17ROCPRIM_304000_NS6detail25onesweep_iteration_kernelINS1_34wrapped_radix_sort_onesweep_configINS0_14default_configElN2at4cuda3cub6detail10OpaqueTypeILi1EEEEELb1EPlSC_PSA_SD_mNS0_19identity_decomposerEEEvT1_T2_T3_T4_jPT5_SK_PNS1_23onesweep_lookback_stateET6_jjj,"axG",@progbits,_ZN7rocprim17ROCPRIM_304000_NS6detail25onesweep_iteration_kernelINS1_34wrapped_radix_sort_onesweep_configINS0_14default_configElN2at4cuda3cub6detail10OpaqueTypeILi1EEEEELb1EPlSC_PSA_SD_mNS0_19identity_decomposerEEEvT1_T2_T3_T4_jPT5_SK_PNS1_23onesweep_lookback_stateET6_jjj,comdat
.Lfunc_end15:
	.size	_ZN7rocprim17ROCPRIM_304000_NS6detail25onesweep_iteration_kernelINS1_34wrapped_radix_sort_onesweep_configINS0_14default_configElN2at4cuda3cub6detail10OpaqueTypeILi1EEEEELb1EPlSC_PSA_SD_mNS0_19identity_decomposerEEEvT1_T2_T3_T4_jPT5_SK_PNS1_23onesweep_lookback_stateET6_jjj, .Lfunc_end15-_ZN7rocprim17ROCPRIM_304000_NS6detail25onesweep_iteration_kernelINS1_34wrapped_radix_sort_onesweep_configINS0_14default_configElN2at4cuda3cub6detail10OpaqueTypeILi1EEEEELb1EPlSC_PSA_SD_mNS0_19identity_decomposerEEEvT1_T2_T3_T4_jPT5_SK_PNS1_23onesweep_lookback_stateET6_jjj
                                        ; -- End function
	.section	.AMDGPU.csdata,"",@progbits
; Kernel info:
; codeLenInByte = 11224
; NumSgprs: 56
; NumVgprs: 46
; NumAgprs: 0
; TotalNumVgprs: 46
; ScratchSize: 0
; MemoryBound: 0
; FloatMode: 240
; IeeeMode: 1
; LDSByteSize: 51200 bytes/workgroup (compile time only)
; SGPRBlocks: 6
; VGPRBlocks: 5
; NumSGPRsForWavesPerEU: 56
; NumVGPRsForWavesPerEU: 46
; AccumOffset: 48
; Occupancy: 4
; WaveLimiterHint : 1
; COMPUTE_PGM_RSRC2:SCRATCH_EN: 0
; COMPUTE_PGM_RSRC2:USER_SGPR: 2
; COMPUTE_PGM_RSRC2:TRAP_HANDLER: 0
; COMPUTE_PGM_RSRC2:TGID_X_EN: 1
; COMPUTE_PGM_RSRC2:TGID_Y_EN: 0
; COMPUTE_PGM_RSRC2:TGID_Z_EN: 0
; COMPUTE_PGM_RSRC2:TIDIG_COMP_CNT: 2
; COMPUTE_PGM_RSRC3_GFX90A:ACCUM_OFFSET: 11
; COMPUTE_PGM_RSRC3_GFX90A:TG_SPLIT: 0
	.section	.text._ZN7rocprim17ROCPRIM_304000_NS6detail28radix_sort_block_sort_kernelINS1_36wrapped_radix_sort_block_sort_configINS0_13kernel_configILj256ELj4ELj4294967295EEElN2at4cuda3cub6detail10OpaqueTypeILi1EEEEELb0EPKlPlPKSB_PSB_NS0_19identity_decomposerEEEvT1_T2_T3_T4_jT5_jj,"axG",@progbits,_ZN7rocprim17ROCPRIM_304000_NS6detail28radix_sort_block_sort_kernelINS1_36wrapped_radix_sort_block_sort_configINS0_13kernel_configILj256ELj4ELj4294967295EEElN2at4cuda3cub6detail10OpaqueTypeILi1EEEEELb0EPKlPlPKSB_PSB_NS0_19identity_decomposerEEEvT1_T2_T3_T4_jT5_jj,comdat
	.protected	_ZN7rocprim17ROCPRIM_304000_NS6detail28radix_sort_block_sort_kernelINS1_36wrapped_radix_sort_block_sort_configINS0_13kernel_configILj256ELj4ELj4294967295EEElN2at4cuda3cub6detail10OpaqueTypeILi1EEEEELb0EPKlPlPKSB_PSB_NS0_19identity_decomposerEEEvT1_T2_T3_T4_jT5_jj ; -- Begin function _ZN7rocprim17ROCPRIM_304000_NS6detail28radix_sort_block_sort_kernelINS1_36wrapped_radix_sort_block_sort_configINS0_13kernel_configILj256ELj4ELj4294967295EEElN2at4cuda3cub6detail10OpaqueTypeILi1EEEEELb0EPKlPlPKSB_PSB_NS0_19identity_decomposerEEEvT1_T2_T3_T4_jT5_jj
	.globl	_ZN7rocprim17ROCPRIM_304000_NS6detail28radix_sort_block_sort_kernelINS1_36wrapped_radix_sort_block_sort_configINS0_13kernel_configILj256ELj4ELj4294967295EEElN2at4cuda3cub6detail10OpaqueTypeILi1EEEEELb0EPKlPlPKSB_PSB_NS0_19identity_decomposerEEEvT1_T2_T3_T4_jT5_jj
	.p2align	8
	.type	_ZN7rocprim17ROCPRIM_304000_NS6detail28radix_sort_block_sort_kernelINS1_36wrapped_radix_sort_block_sort_configINS0_13kernel_configILj256ELj4ELj4294967295EEElN2at4cuda3cub6detail10OpaqueTypeILi1EEEEELb0EPKlPlPKSB_PSB_NS0_19identity_decomposerEEEvT1_T2_T3_T4_jT5_jj,@function
_ZN7rocprim17ROCPRIM_304000_NS6detail28radix_sort_block_sort_kernelINS1_36wrapped_radix_sort_block_sort_configINS0_13kernel_configILj256ELj4ELj4294967295EEElN2at4cuda3cub6detail10OpaqueTypeILi1EEEEELb0EPKlPlPKSB_PSB_NS0_19identity_decomposerEEEvT1_T2_T3_T4_jT5_jj: ; @_ZN7rocprim17ROCPRIM_304000_NS6detail28radix_sort_block_sort_kernelINS1_36wrapped_radix_sort_block_sort_configINS0_13kernel_configILj256ELj4ELj4294967295EEElN2at4cuda3cub6detail10OpaqueTypeILi1EEEEELb0EPKlPlPKSB_PSB_NS0_19identity_decomposerEEEvT1_T2_T3_T4_jT5_jj
; %bb.0:
	s_load_dword s4, s[0:1], 0x20
	s_load_dwordx8 s[36:43], s[0:1], 0x0
	s_lshl_b32 s28, s2, 10
	s_mov_b32 s29, 0
	v_and_b32_e32 v10, 0x3ff, v0
	s_waitcnt lgkmcnt(0)
	s_lshr_b32 s3, s4, 10
	s_cmp_lg_u32 s2, s3
	s_cselect_b64 s[30:31], -1, 0
	s_lshl_b64 s[34:35], s[28:29], 3
	v_mbcnt_lo_u32_b32 v1, -1, 0
	s_add_u32 s6, s36, s34
	v_mbcnt_hi_u32_b32 v12, -1, v1
	v_lshlrev_b32_e32 v1, 2, v10
	v_mov_b32_e32 v13, 0
	s_addc_u32 s7, s37, s35
	v_and_b32_e32 v14, 0x300, v1
	v_lshlrev_b32_e32 v2, 3, v12
	v_mov_b32_e32 v3, v13
	v_lshl_add_u64 v[2:3], s[6:7], 0, v[2:3]
	v_lshlrev_b32_e32 v4, 3, v14
	v_mov_b32_e32 v5, v13
	s_cmp_eq_u32 s2, s3
	v_mov_b32_e32 v15, v13
	v_lshl_add_u64 v[16:17], v[2:3], 0, v[4:5]
	v_add_u32_e32 v18, v12, v14
	s_cbranch_scc1 .LBB16_2
; %bb.1:
	s_add_u32 s2, s40, s28
	s_addc_u32 s3, s41, 0
	v_lshl_add_u64 v[20:21], s[2:3], 0, v[12:13]
	v_lshl_add_u64 v[20:21], v[20:21], 0, v[14:15]
	global_load_dwordx2 v[2:3], v[16:17], off
	global_load_dwordx2 v[4:5], v[16:17], off offset:512
	global_load_dwordx2 v[6:7], v[16:17], off offset:1024
	;; [unrolled: 1-line block ×3, first 2 shown]
	global_load_ubyte v43, v[20:21], off
	global_load_ubyte v44, v[20:21], off offset:64
	global_load_ubyte v45, v[20:21], off offset:128
	;; [unrolled: 1-line block ×3, first 2 shown]
	v_add_u32_e32 v28, v12, v14
	v_add_u32_e32 v11, 64, v28
	;; [unrolled: 1-line block ×4, first 2 shown]
	s_sub_i32 s29, s4, s28
	s_cbranch_execz .LBB16_3
	s_branch .LBB16_17
.LBB16_2:
                                        ; implicit-def: $vgpr2_vgpr3_vgpr4_vgpr5_vgpr6_vgpr7_vgpr8_vgpr9
                                        ; implicit-def: $vgpr43
                                        ; implicit-def: $vgpr44
                                        ; implicit-def: $vgpr45
                                        ; implicit-def: $vgpr46
                                        ; implicit-def: $vgpr28
                                        ; implicit-def: $vgpr11
                                        ; implicit-def: $vgpr26
                                        ; implicit-def: $vgpr27
	s_sub_i32 s29, s4, s28
.LBB16_3:
	s_brev_b32 s5, -2
	s_mov_b32 s4, -1
	s_mov_b32 s6, s4
	s_mov_b32 s7, s5
	;; [unrolled: 1-line block ×6, first 2 shown]
	s_waitcnt vmcnt(4)
	v_mov_b64_e32 v[2:3], s[4:5]
	v_cmp_gt_u32_e32 vcc, s29, v18
	v_mov_b64_e32 v[4:5], s[6:7]
	v_mov_b64_e32 v[6:7], s[8:9]
	;; [unrolled: 1-line block ×3, first 2 shown]
	s_and_saveexec_b64 s[2:3], vcc
	s_cbranch_execz .LBB16_5
; %bb.4:
	global_load_dwordx2 v[2:3], v[16:17], off
	v_mov_b32_e32 v4, -1
	v_bfrev_b32_e32 v5, -2
	v_mov_b32_e32 v6, v4
	v_mov_b32_e32 v7, v5
	;; [unrolled: 1-line block ×4, first 2 shown]
.LBB16_5:
	s_or_b64 exec, exec, s[2:3]
	v_add_u32_e32 v11, 64, v18
	v_cmp_gt_u32_e64 s[2:3], s29, v11
	s_and_saveexec_b64 s[4:5], s[2:3]
	s_cbranch_execz .LBB16_7
; %bb.6:
	global_load_dwordx2 v[4:5], v[16:17], off offset:512
.LBB16_7:
	s_or_b64 exec, exec, s[4:5]
	v_add_u32_e32 v26, 0x80, v18
	v_cmp_gt_u32_e64 s[4:5], s29, v26
	s_and_saveexec_b64 s[6:7], s[4:5]
	s_cbranch_execz .LBB16_9
; %bb.8:
	global_load_dwordx2 v[6:7], v[16:17], off offset:1024
.LBB16_9:
	;; [unrolled: 8-line block ×3, first 2 shown]
	s_or_b64 exec, exec, s[8:9]
	s_add_u32 s8, s40, s28
	s_addc_u32 s9, s41, 0
	v_lshl_add_u64 v[16:17], s[8:9], 0, v[12:13]
	v_lshl_add_u64 v[14:15], v[16:17], 0, v[14:15]
                                        ; implicit-def: $vgpr43
	s_and_saveexec_b64 s[8:9], vcc
	s_cbranch_execnz .LBB16_54
; %bb.12:
	s_or_b64 exec, exec, s[8:9]
                                        ; implicit-def: $vgpr44
	s_and_saveexec_b64 s[8:9], s[2:3]
	s_cbranch_execnz .LBB16_55
.LBB16_13:
	s_or_b64 exec, exec, s[8:9]
                                        ; implicit-def: $vgpr45
	s_and_saveexec_b64 s[2:3], s[4:5]
	s_cbranch_execnz .LBB16_56
.LBB16_14:
	s_or_b64 exec, exec, s[2:3]
                                        ; implicit-def: $vgpr46
	s_and_saveexec_b64 s[2:3], s[6:7]
	s_cbranch_execz .LBB16_16
.LBB16_15:
	global_load_ubyte v46, v[14:15], off offset:192
.LBB16_16:
	s_or_b64 exec, exec, s[2:3]
	v_mov_b32_e32 v28, v18
.LBB16_17:
	s_load_dwordx2 s[36:37], s[0:1], 0x28
	v_bfe_u32 v13, v0, 10, 10
	s_load_dword s0, s[0:1], 0x3c
	v_bfe_u32 v0, v0, 20, 10
	v_lshlrev_b32_e32 v29, 2, v1
	v_and_b32_e32 v1, 64, v12
	s_mov_b32 s26, 0
	s_waitcnt lgkmcnt(0)
	s_lshr_b32 s1, s0, 16
	s_and_b32 s0, s0, 0xffff
	v_mad_u32_u24 v0, v0, s1, v13
	v_mad_u64_u32 v[14:15], s[0:1], v0, s0, v[10:11]
	v_and_b32_e32 v0, 15, v12
	v_cmp_eq_u32_e64 s[0:1], 0, v0
	v_cmp_lt_u32_e64 s[2:3], 1, v0
	v_cmp_lt_u32_e64 s[4:5], 3, v0
	;; [unrolled: 1-line block ×3, first 2 shown]
	v_and_b32_e32 v0, 16, v12
	v_cmp_eq_u32_e64 s[8:9], 0, v0
	v_and_b32_e32 v0, 0x3c0, v10
	v_min_u32_e32 v0, 0xc0, v0
	v_or_b32_e32 v0, 63, v0
	v_cmp_eq_u32_e64 s[12:13], v0, v10
	v_add_u32_e32 v0, -1, v12
	v_cmp_lt_i32_e32 vcc, v0, v1
	v_and_b32_e32 v1, 3, v12
	s_mov_b32 s27, s26
	v_cndmask_b32_e32 v0, v0, v12, vcc
	v_lshlrev_b32_e32 v31, 2, v0
	v_lshrrev_b32_e32 v0, 4, v10
	v_and_b32_e32 v32, 60, v0
	v_mul_i32_i24_e32 v0, -12, v10
	s_mov_b32 s40, s26
	s_mov_b32 s41, s26
	s_waitcnt vmcnt(0)
	v_xor_b32_e32 v3, 0x80000000, v3
	v_xor_b32_e32 v5, 0x80000000, v5
	;; [unrolled: 1-line block ×3, first 2 shown]
	s_add_i32 s33, s37, s36
	v_xor_b32_e32 v9, 0x80000000, v9
	v_lshrrev_b32_e32 v30, 6, v14
	v_cmp_lt_u32_e64 s[10:11], 31, v12
	v_cmp_gt_u32_e64 s[14:15], 4, v10
	v_cmp_lt_u32_e64 s[16:17], 63, v10
	v_cmp_eq_u32_e64 s[18:19], 0, v12
	v_cmp_eq_u32_e64 s[20:21], 0, v10
	;; [unrolled: 1-line block ×3, first 2 shown]
	v_cmp_lt_u32_e64 s[24:25], 1, v1
	v_add_u32_e32 v33, -4, v32
	v_lshlrev_b32_e32 v34, 3, v28
	v_lshlrev_b32_e32 v35, 3, v11
	;; [unrolled: 1-line block ×4, first 2 shown]
	v_mov_b64_e32 v[12:13], s[26:27]
	v_mov_b64_e32 v[14:15], s[40:41]
	v_add_u32_e32 v42, v29, v0
	v_mov_b32_e32 v17, 0
	s_branch .LBB16_19
.LBB16_18:                              ;   in Loop: Header=BB16_19 Depth=1
	s_barrier
	ds_write_b64 v0, v[24:25]
	ds_write_b64 v1, v[22:23]
	;; [unrolled: 1-line block ×4, first 2 shown]
	s_waitcnt lgkmcnt(0)
	s_barrier
	ds_read_b64 v[2:3], v34
	ds_read_b64 v[4:5], v35
	;; [unrolled: 1-line block ×4, first 2 shown]
	s_waitcnt lgkmcnt(0)
	s_barrier
	ds_write_b8 v16, v41
	ds_write_b8 v47, v40
	;; [unrolled: 1-line block ×4, first 2 shown]
	s_waitcnt lgkmcnt(0)
	s_barrier
	ds_read_u8 v43, v28
	ds_read_u8 v44, v11
	;; [unrolled: 1-line block ×4, first 2 shown]
	s_add_i32 s37, s37, -8
	s_waitcnt lgkmcnt(0)
	s_barrier
	s_cbranch_execz .LBB16_35
.LBB16_19:                              ; =>This Inner Loop Header: Depth=1
	s_min_u32 s26, s37, 8
	v_mov_b64_e32 v[24:25], v[2:3]
	s_lshl_b32 s26, -1, s26
	s_not_b32 s40, s26
	v_lshrrev_b64 v[0:1], s36, v[24:25]
	v_and_b32_e32 v2, s40, v0
	v_lshl_add_u32 v0, v2, 2, v30
	v_and_b32_e32 v16, 1, v2
	v_mov_b64_e32 v[22:23], v[4:5]
	v_lshl_add_u32 v4, v0, 2, 16
	v_lshl_add_u64 v[0:1], v[16:17], 0, -1
	v_cmp_ne_u32_e32 vcc, 0, v16
	v_mov_b64_e32 v[18:19], v[8:9]
	v_mov_b64_e32 v[20:21], v[6:7]
	v_xor_b32_e32 v1, vcc_hi, v1
	v_xor_b32_e32 v0, vcc_lo, v0
	v_and_b32_e32 v3, exec_hi, v1
	v_and_b32_e32 v5, exec_lo, v0
	v_lshlrev_b32_e32 v1, 30, v2
	v_mov_b32_e32 v0, v17
	v_cmp_gt_i64_e32 vcc, 0, v[0:1]
	v_not_b32_e32 v0, v1
	v_ashrrev_i32_e32 v0, 31, v0
	v_xor_b32_e32 v1, vcc_hi, v0
	v_xor_b32_e32 v0, vcc_lo, v0
	v_and_b32_e32 v3, v3, v1
	v_and_b32_e32 v5, v5, v0
	v_lshlrev_b32_e32 v1, 29, v2
	v_mov_b32_e32 v0, v17
	v_cmp_gt_i64_e32 vcc, 0, v[0:1]
	v_not_b32_e32 v0, v1
	v_ashrrev_i32_e32 v0, 31, v0
	v_xor_b32_e32 v1, vcc_hi, v0
	v_xor_b32_e32 v0, vcc_lo, v0
	v_and_b32_e32 v3, v3, v1
	v_and_b32_e32 v5, v5, v0
	;; [unrolled: 9-line block ×7, first 2 shown]
	v_mbcnt_lo_u32_b32 v2, v0, 0
	v_mbcnt_hi_u32_b32 v5, v1, v2
	v_cmp_eq_u32_e32 vcc, 0, v5
	v_cmp_ne_u64_e64 s[26:27], 0, v[0:1]
	v_mov_b32_e32 v41, v43
	v_mov_b32_e32 v40, v44
	;; [unrolled: 1-line block ×4, first 2 shown]
	s_and_b64 s[44:45], s[26:27], vcc
	ds_write2_b64 v29, v[12:13], v[14:15] offset0:2 offset1:3
	s_waitcnt lgkmcnt(0)
	s_barrier
	s_waitcnt lgkmcnt(0)
	; wave barrier
	s_and_saveexec_b64 s[26:27], s[44:45]
	s_cbranch_execz .LBB16_21
; %bb.20:                               ;   in Loop: Header=BB16_19 Depth=1
	v_bcnt_u32_b32 v0, v0, 0
	v_bcnt_u32_b32 v0, v1, v0
	ds_write_b32 v4, v0
.LBB16_21:                              ;   in Loop: Header=BB16_19 Depth=1
	s_or_b64 exec, exec, s[26:27]
	v_lshrrev_b64 v[0:1], s36, v[22:23]
	v_and_b32_e32 v2, s40, v0
	v_lshlrev_b32_e32 v0, 2, v2
	v_add_lshl_u32 v0, v0, v30, 2
	v_and_b32_e32 v16, 1, v2
	; wave barrier
	v_add_u32_e32 v7, 16, v0
	ds_read_b32 v6, v0 offset:16
	v_lshl_add_u64 v[0:1], v[16:17], 0, -1
	v_cmp_ne_u32_e32 vcc, 0, v16
	; wave barrier
	s_nop 1
	v_xor_b32_e32 v1, vcc_hi, v1
	v_xor_b32_e32 v0, vcc_lo, v0
	v_and_b32_e32 v3, exec_hi, v1
	v_and_b32_e32 v8, exec_lo, v0
	v_lshlrev_b32_e32 v1, 30, v2
	v_mov_b32_e32 v0, v17
	v_cmp_gt_i64_e32 vcc, 0, v[0:1]
	v_not_b32_e32 v0, v1
	v_ashrrev_i32_e32 v0, 31, v0
	v_xor_b32_e32 v1, vcc_hi, v0
	v_xor_b32_e32 v0, vcc_lo, v0
	v_and_b32_e32 v3, v3, v1
	v_and_b32_e32 v8, v8, v0
	v_lshlrev_b32_e32 v1, 29, v2
	v_mov_b32_e32 v0, v17
	v_cmp_gt_i64_e32 vcc, 0, v[0:1]
	v_not_b32_e32 v0, v1
	v_ashrrev_i32_e32 v0, 31, v0
	v_xor_b32_e32 v1, vcc_hi, v0
	v_xor_b32_e32 v0, vcc_lo, v0
	v_and_b32_e32 v3, v3, v1
	v_and_b32_e32 v8, v8, v0
	;; [unrolled: 9-line block ×7, first 2 shown]
	v_mbcnt_lo_u32_b32 v2, v0, 0
	v_mbcnt_hi_u32_b32 v8, v1, v2
	v_cmp_eq_u32_e32 vcc, 0, v8
	v_cmp_ne_u64_e64 s[26:27], 0, v[0:1]
	s_and_b64 s[44:45], s[26:27], vcc
	s_and_saveexec_b64 s[26:27], s[44:45]
	s_cbranch_execz .LBB16_23
; %bb.22:                               ;   in Loop: Header=BB16_19 Depth=1
	v_bcnt_u32_b32 v0, v0, 0
	v_bcnt_u32_b32 v0, v1, v0
	s_waitcnt lgkmcnt(0)
	v_add_u32_e32 v0, v6, v0
	ds_write_b32 v7, v0
.LBB16_23:                              ;   in Loop: Header=BB16_19 Depth=1
	s_or_b64 exec, exec, s[26:27]
	v_lshrrev_b64 v[0:1], s36, v[20:21]
	v_and_b32_e32 v2, s40, v0
	v_lshlrev_b32_e32 v0, 2, v2
	v_add_lshl_u32 v0, v0, v30, 2
	v_and_b32_e32 v16, 1, v2
	; wave barrier
	v_add_u32_e32 v43, 16, v0
	ds_read_b32 v9, v0 offset:16
	v_lshl_add_u64 v[0:1], v[16:17], 0, -1
	v_cmp_ne_u32_e32 vcc, 0, v16
	; wave barrier
	s_nop 1
	v_xor_b32_e32 v1, vcc_hi, v1
	v_xor_b32_e32 v0, vcc_lo, v0
	v_and_b32_e32 v3, exec_hi, v1
	v_and_b32_e32 v16, exec_lo, v0
	v_lshlrev_b32_e32 v1, 30, v2
	v_mov_b32_e32 v0, v17
	v_cmp_gt_i64_e32 vcc, 0, v[0:1]
	v_not_b32_e32 v0, v1
	v_ashrrev_i32_e32 v0, 31, v0
	v_xor_b32_e32 v1, vcc_hi, v0
	v_xor_b32_e32 v0, vcc_lo, v0
	v_and_b32_e32 v3, v3, v1
	v_and_b32_e32 v16, v16, v0
	v_lshlrev_b32_e32 v1, 29, v2
	v_mov_b32_e32 v0, v17
	v_cmp_gt_i64_e32 vcc, 0, v[0:1]
	v_not_b32_e32 v0, v1
	v_ashrrev_i32_e32 v0, 31, v0
	v_xor_b32_e32 v1, vcc_hi, v0
	v_xor_b32_e32 v0, vcc_lo, v0
	v_and_b32_e32 v3, v3, v1
	v_and_b32_e32 v16, v16, v0
	v_lshlrev_b32_e32 v1, 28, v2
	v_mov_b32_e32 v0, v17
	v_cmp_gt_i64_e32 vcc, 0, v[0:1]
	v_not_b32_e32 v0, v1
	v_ashrrev_i32_e32 v0, 31, v0
	v_xor_b32_e32 v1, vcc_hi, v0
	v_xor_b32_e32 v0, vcc_lo, v0
	v_and_b32_e32 v3, v3, v1
	v_and_b32_e32 v16, v16, v0
	v_lshlrev_b32_e32 v1, 27, v2
	v_mov_b32_e32 v0, v17
	v_cmp_gt_i64_e32 vcc, 0, v[0:1]
	v_not_b32_e32 v0, v1
	v_ashrrev_i32_e32 v0, 31, v0
	v_xor_b32_e32 v1, vcc_hi, v0
	v_xor_b32_e32 v0, vcc_lo, v0
	v_and_b32_e32 v3, v3, v1
	v_and_b32_e32 v16, v16, v0
	v_lshlrev_b32_e32 v1, 26, v2
	v_mov_b32_e32 v0, v17
	v_cmp_gt_i64_e32 vcc, 0, v[0:1]
	v_not_b32_e32 v0, v1
	v_ashrrev_i32_e32 v0, 31, v0
	v_xor_b32_e32 v1, vcc_hi, v0
	v_xor_b32_e32 v0, vcc_lo, v0
	v_and_b32_e32 v3, v3, v1
	v_and_b32_e32 v16, v16, v0
	v_lshlrev_b32_e32 v1, 25, v2
	v_mov_b32_e32 v0, v17
	v_cmp_gt_i64_e32 vcc, 0, v[0:1]
	v_not_b32_e32 v0, v1
	v_ashrrev_i32_e32 v0, 31, v0
	v_xor_b32_e32 v1, vcc_hi, v0
	v_xor_b32_e32 v0, vcc_lo, v0
	v_and_b32_e32 v3, v3, v1
	v_and_b32_e32 v16, v16, v0
	v_lshlrev_b32_e32 v1, 24, v2
	v_mov_b32_e32 v0, v17
	v_cmp_gt_i64_e32 vcc, 0, v[0:1]
	v_not_b32_e32 v0, v1
	v_ashrrev_i32_e32 v0, 31, v0
	v_xor_b32_e32 v1, vcc_hi, v0
	v_xor_b32_e32 v0, vcc_lo, v0
	v_and_b32_e32 v0, v16, v0
	v_and_b32_e32 v1, v3, v1
	v_mbcnt_lo_u32_b32 v2, v0, 0
	v_mbcnt_hi_u32_b32 v44, v1, v2
	v_cmp_eq_u32_e32 vcc, 0, v44
	v_cmp_ne_u64_e64 s[26:27], 0, v[0:1]
	s_and_b64 s[44:45], s[26:27], vcc
	s_and_saveexec_b64 s[26:27], s[44:45]
	s_cbranch_execz .LBB16_25
; %bb.24:                               ;   in Loop: Header=BB16_19 Depth=1
	v_bcnt_u32_b32 v0, v0, 0
	v_bcnt_u32_b32 v0, v1, v0
	s_waitcnt lgkmcnt(0)
	v_add_u32_e32 v0, v9, v0
	ds_write_b32 v43, v0
.LBB16_25:                              ;   in Loop: Header=BB16_19 Depth=1
	s_or_b64 exec, exec, s[26:27]
	v_lshrrev_b64 v[0:1], s36, v[18:19]
	v_and_b32_e32 v2, s40, v0
	v_lshlrev_b32_e32 v0, 2, v2
	v_add_lshl_u32 v0, v0, v30, 2
	v_and_b32_e32 v16, 1, v2
	; wave barrier
	v_add_u32_e32 v46, 16, v0
	ds_read_b32 v45, v0 offset:16
	v_lshl_add_u64 v[0:1], v[16:17], 0, -1
	v_cmp_ne_u32_e32 vcc, 0, v16
	; wave barrier
	s_nop 1
	v_xor_b32_e32 v1, vcc_hi, v1
	v_xor_b32_e32 v0, vcc_lo, v0
	v_and_b32_e32 v3, exec_hi, v1
	v_and_b32_e32 v16, exec_lo, v0
	v_lshlrev_b32_e32 v1, 30, v2
	v_mov_b32_e32 v0, v17
	v_cmp_gt_i64_e32 vcc, 0, v[0:1]
	v_not_b32_e32 v0, v1
	v_ashrrev_i32_e32 v0, 31, v0
	v_xor_b32_e32 v1, vcc_hi, v0
	v_xor_b32_e32 v0, vcc_lo, v0
	v_and_b32_e32 v3, v3, v1
	v_and_b32_e32 v16, v16, v0
	v_lshlrev_b32_e32 v1, 29, v2
	v_mov_b32_e32 v0, v17
	v_cmp_gt_i64_e32 vcc, 0, v[0:1]
	v_not_b32_e32 v0, v1
	v_ashrrev_i32_e32 v0, 31, v0
	v_xor_b32_e32 v1, vcc_hi, v0
	v_xor_b32_e32 v0, vcc_lo, v0
	v_and_b32_e32 v3, v3, v1
	v_and_b32_e32 v16, v16, v0
	;; [unrolled: 9-line block ×7, first 2 shown]
	v_mbcnt_lo_u32_b32 v2, v0, 0
	v_mbcnt_hi_u32_b32 v49, v1, v2
	v_cmp_eq_u32_e32 vcc, 0, v49
	v_cmp_ne_u64_e64 s[26:27], 0, v[0:1]
	s_and_b64 s[40:41], s[26:27], vcc
	s_and_saveexec_b64 s[26:27], s[40:41]
	s_cbranch_execz .LBB16_27
; %bb.26:                               ;   in Loop: Header=BB16_19 Depth=1
	v_bcnt_u32_b32 v0, v0, 0
	v_bcnt_u32_b32 v0, v1, v0
	s_waitcnt lgkmcnt(0)
	v_add_u32_e32 v0, v45, v0
	ds_write_b32 v46, v0
.LBB16_27:                              ;   in Loop: Header=BB16_19 Depth=1
	s_or_b64 exec, exec, s[26:27]
	; wave barrier
	s_waitcnt lgkmcnt(0)
	s_barrier
	ds_read2_b64 v[0:3], v29 offset0:2 offset1:3
	s_waitcnt lgkmcnt(0)
	v_add_u32_e32 v16, v1, v0
	v_add3_u32 v3, v16, v2, v3
	s_nop 1
	v_mov_b32_dpp v16, v3 row_shr:1 row_mask:0xf bank_mask:0xf
	v_cndmask_b32_e64 v16, v16, 0, s[0:1]
	v_add_u32_e32 v3, v16, v3
	s_nop 1
	v_mov_b32_dpp v16, v3 row_shr:2 row_mask:0xf bank_mask:0xf
	v_cndmask_b32_e64 v16, 0, v16, s[2:3]
	v_add_u32_e32 v3, v3, v16
	;; [unrolled: 4-line block ×4, first 2 shown]
	s_nop 1
	v_mov_b32_dpp v16, v3 row_bcast:15 row_mask:0xf bank_mask:0xf
	v_cndmask_b32_e64 v16, v16, 0, s[8:9]
	v_add_u32_e32 v3, v3, v16
	s_nop 1
	v_mov_b32_dpp v16, v3 row_bcast:31 row_mask:0xf bank_mask:0xf
	v_cndmask_b32_e64 v16, 0, v16, s[10:11]
	v_add_u32_e32 v3, v3, v16
	s_and_saveexec_b64 s[26:27], s[12:13]
	s_cbranch_execz .LBB16_29
; %bb.28:                               ;   in Loop: Header=BB16_19 Depth=1
	ds_write_b32 v32, v3
.LBB16_29:                              ;   in Loop: Header=BB16_19 Depth=1
	s_or_b64 exec, exec, s[26:27]
	s_waitcnt lgkmcnt(0)
	s_barrier
	s_and_saveexec_b64 s[26:27], s[14:15]
	s_cbranch_execz .LBB16_31
; %bb.30:                               ;   in Loop: Header=BB16_19 Depth=1
	ds_read_b32 v16, v42
	s_waitcnt lgkmcnt(0)
	s_nop 0
	v_mov_b32_dpp v47, v16 row_shr:1 row_mask:0xf bank_mask:0xf
	v_cndmask_b32_e64 v47, v47, 0, s[22:23]
	v_add_u32_e32 v16, v47, v16
	s_nop 1
	v_mov_b32_dpp v47, v16 row_shr:2 row_mask:0xf bank_mask:0xf
	v_cndmask_b32_e64 v47, 0, v47, s[24:25]
	v_add_u32_e32 v16, v16, v47
	ds_write_b32 v42, v16
.LBB16_31:                              ;   in Loop: Header=BB16_19 Depth=1
	s_or_b64 exec, exec, s[26:27]
	v_mov_b32_e32 v16, 0
	s_waitcnt lgkmcnt(0)
	s_barrier
	s_and_saveexec_b64 s[26:27], s[16:17]
	s_cbranch_execz .LBB16_33
; %bb.32:                               ;   in Loop: Header=BB16_19 Depth=1
	ds_read_b32 v16, v33
.LBB16_33:                              ;   in Loop: Header=BB16_19 Depth=1
	s_or_b64 exec, exec, s[26:27]
	s_waitcnt lgkmcnt(0)
	v_add_u32_e32 v3, v16, v3
	ds_bpermute_b32 v3, v31, v3
	s_add_i32 s36, s36, 8
	s_cmp_ge_u32 s36, s33
	s_waitcnt lgkmcnt(0)
	v_cndmask_b32_e64 v3, v3, v16, s[18:19]
	v_cndmask_b32_e64 v50, v3, 0, s[20:21]
	v_add_u32_e32 v51, v50, v0
	v_add_u32_e32 v0, v51, v1
	;; [unrolled: 1-line block ×3, first 2 shown]
	ds_write2_b64 v29, v[50:51], v[0:1] offset0:2 offset1:3
	s_waitcnt lgkmcnt(0)
	s_barrier
	ds_read_b32 v0, v4
	ds_read_b32 v1, v7
	;; [unrolled: 1-line block ×4, first 2 shown]
	s_waitcnt lgkmcnt(0)
	v_add_u32_e32 v16, v0, v5
	v_add3_u32 v47, v8, v6, v1
	v_add3_u32 v48, v44, v9, v2
	;; [unrolled: 1-line block ×3, first 2 shown]
	v_lshlrev_b32_e32 v0, 3, v16
	v_lshlrev_b32_e32 v1, 3, v47
	v_lshlrev_b32_e32 v50, 3, v48
	v_lshlrev_b32_e32 v51, 3, v49
	s_cbranch_scc0 .LBB16_18
; %bb.34:
                                        ; implicit-def: $vgpr8_vgpr9
                                        ; implicit-def: $sgpr36
                                        ; implicit-def: $vgpr43
                                        ; implicit-def: $vgpr44
                                        ; implicit-def: $vgpr45
                                        ; implicit-def: $vgpr46
.LBB16_35:
	v_lshlrev_b32_e32 v8, 3, v10
	s_barrier
	ds_write_b64 v0, v[24:25]
	ds_write_b64 v1, v[22:23]
	;; [unrolled: 1-line block ×4, first 2 shown]
	s_waitcnt lgkmcnt(0)
	s_barrier
	ds_read2st64_b64 v[4:7], v8 offset1:4
	ds_read2st64_b64 v[0:3], v8 offset0:8 offset1:12
	s_waitcnt lgkmcnt(0)
	s_barrier
	ds_write_b8 v16, v41
	ds_write_b8 v47, v40
	ds_write_b8 v48, v39
	ds_write_b8 v49, v38
	s_waitcnt lgkmcnt(0)
	s_barrier
	ds_read_u8 v15, v10
	ds_read_u8 v14, v10 offset:256
	ds_read_u8 v13, v10 offset:512
	ds_read_u8 v12, v10 offset:768
	s_add_u32 s0, s38, s34
	v_mov_b32_e32 v11, 0
	s_addc_u32 s1, s39, s35
	v_mov_b32_e32 v9, v11
	v_xor_b32_e32 v5, 0x80000000, v5
	v_xor_b32_e32 v7, 0x80000000, v7
	;; [unrolled: 1-line block ×4, first 2 shown]
	s_andn2_b64 vcc, exec, s[30:31]
	v_lshl_add_u64 v[8:9], s[0:1], 0, v[8:9]
	s_cbranch_vccnz .LBB16_37
; %bb.36:
	v_add_co_u32_e32 v16, vcc, 0x1000, v8
	s_add_u32 s0, s42, s28
	s_nop 0
	v_addc_co_u32_e32 v17, vcc, 0, v9, vcc
	s_addc_u32 s1, s43, 0
	global_store_dwordx2 v[8:9], v[4:5], off
	global_store_dwordx2 v[8:9], v[6:7], off offset:2048
	global_store_dwordx2 v[16:17], v[0:1], off
	global_store_dwordx2 v[16:17], v[2:3], off offset:2048
	v_lshl_add_u64 v[16:17], s[0:1], 0, v[10:11]
	s_mov_b64 s[6:7], -1
	s_waitcnt lgkmcnt(3)
	global_store_byte v[16:17], v15, off
	s_waitcnt lgkmcnt(2)
	global_store_byte v[16:17], v14, off offset:256
	s_waitcnt lgkmcnt(1)
	global_store_byte v[16:17], v13, off offset:512
	s_cbranch_execz .LBB16_38
	s_branch .LBB16_51
.LBB16_37:
	s_mov_b64 s[6:7], 0
.LBB16_38:
	v_cmp_gt_u32_e64 s[0:1], s29, v10
	s_and_saveexec_b64 s[2:3], s[0:1]
	s_cbranch_execz .LBB16_40
; %bb.39:
	global_store_dwordx2 v[8:9], v[4:5], off
.LBB16_40:
	s_or_b64 exec, exec, s[2:3]
	v_add_u32_e32 v4, 0x100, v10
	v_cmp_gt_u32_e64 s[2:3], s29, v4
	s_and_saveexec_b64 s[4:5], s[2:3]
	s_cbranch_execz .LBB16_42
; %bb.41:
	global_store_dwordx2 v[8:9], v[6:7], off offset:2048
.LBB16_42:
	s_or_b64 exec, exec, s[4:5]
	v_add_u32_e32 v4, 0x200, v10
	v_cmp_gt_u32_e64 s[4:5], s29, v4
	s_and_saveexec_b64 s[6:7], s[4:5]
	s_cbranch_execz .LBB16_44
; %bb.43:
	v_add_co_u32_e32 v4, vcc, 0x1000, v8
	s_nop 1
	v_addc_co_u32_e32 v5, vcc, 0, v9, vcc
	global_store_dwordx2 v[4:5], v[0:1], off
.LBB16_44:
	s_or_b64 exec, exec, s[6:7]
	v_add_u32_e32 v0, 0x300, v10
	v_cmp_gt_u32_e64 s[6:7], s29, v0
	s_and_saveexec_b64 s[8:9], s[6:7]
	s_cbranch_execz .LBB16_46
; %bb.45:
	v_add_co_u32_e32 v0, vcc, 0x1000, v8
	s_nop 1
	v_addc_co_u32_e32 v1, vcc, 0, v9, vcc
	global_store_dwordx2 v[0:1], v[2:3], off offset:2048
.LBB16_46:
	s_or_b64 exec, exec, s[8:9]
	s_add_u32 s8, s42, s28
	s_addc_u32 s9, s43, 0
	v_lshl_add_u64 v[0:1], s[8:9], 0, v[10:11]
	s_and_saveexec_b64 s[8:9], s[0:1]
	s_cbranch_execnz .LBB16_57
; %bb.47:
	s_or_b64 exec, exec, s[8:9]
	s_and_saveexec_b64 s[0:1], s[2:3]
	s_cbranch_execnz .LBB16_58
.LBB16_48:
	s_or_b64 exec, exec, s[0:1]
	s_and_saveexec_b64 s[0:1], s[4:5]
	s_cbranch_execz .LBB16_50
.LBB16_49:
	s_waitcnt lgkmcnt(1)
	global_store_byte v[0:1], v13, off offset:512
.LBB16_50:
	s_or_b64 exec, exec, s[0:1]
.LBB16_51:
	s_and_saveexec_b64 s[0:1], s[6:7]
	s_cbranch_execnz .LBB16_53
; %bb.52:
	s_endpgm
.LBB16_53:
	s_add_u32 s0, s42, s28
	s_addc_u32 s1, s43, 0
	v_lshl_add_u64 v[0:1], s[0:1], 0, v[10:11]
	s_waitcnt lgkmcnt(0)
	global_store_byte v[0:1], v12, off offset:768
	s_endpgm
.LBB16_54:
	global_load_ubyte v43, v[14:15], off
	s_or_b64 exec, exec, s[8:9]
                                        ; implicit-def: $vgpr44
	s_and_saveexec_b64 s[8:9], s[2:3]
	s_cbranch_execz .LBB16_13
.LBB16_55:
	global_load_ubyte v44, v[14:15], off offset:64
	s_or_b64 exec, exec, s[8:9]
                                        ; implicit-def: $vgpr45
	s_and_saveexec_b64 s[2:3], s[4:5]
	s_cbranch_execz .LBB16_14
.LBB16_56:
	global_load_ubyte v45, v[14:15], off offset:128
	s_or_b64 exec, exec, s[2:3]
                                        ; implicit-def: $vgpr46
	s_and_saveexec_b64 s[2:3], s[6:7]
	s_cbranch_execnz .LBB16_15
	s_branch .LBB16_16
.LBB16_57:
	s_waitcnt lgkmcnt(3)
	global_store_byte v[0:1], v15, off
	s_or_b64 exec, exec, s[8:9]
	s_and_saveexec_b64 s[0:1], s[2:3]
	s_cbranch_execz .LBB16_48
.LBB16_58:
	s_waitcnt lgkmcnt(2)
	global_store_byte v[0:1], v14, off offset:256
	s_or_b64 exec, exec, s[0:1]
	s_and_saveexec_b64 s[0:1], s[4:5]
	s_cbranch_execnz .LBB16_49
	s_branch .LBB16_50
	.section	.rodata,"a",@progbits
	.p2align	6, 0x0
	.amdhsa_kernel _ZN7rocprim17ROCPRIM_304000_NS6detail28radix_sort_block_sort_kernelINS1_36wrapped_radix_sort_block_sort_configINS0_13kernel_configILj256ELj4ELj4294967295EEElN2at4cuda3cub6detail10OpaqueTypeILi1EEEEELb0EPKlPlPKSB_PSB_NS0_19identity_decomposerEEEvT1_T2_T3_T4_jT5_jj
		.amdhsa_group_segment_fixed_size 8192
		.amdhsa_private_segment_fixed_size 0
		.amdhsa_kernarg_size 304
		.amdhsa_user_sgpr_count 2
		.amdhsa_user_sgpr_dispatch_ptr 0
		.amdhsa_user_sgpr_queue_ptr 0
		.amdhsa_user_sgpr_kernarg_segment_ptr 1
		.amdhsa_user_sgpr_dispatch_id 0
		.amdhsa_user_sgpr_kernarg_preload_length 0
		.amdhsa_user_sgpr_kernarg_preload_offset 0
		.amdhsa_user_sgpr_private_segment_size 0
		.amdhsa_uses_dynamic_stack 0
		.amdhsa_enable_private_segment 0
		.amdhsa_system_sgpr_workgroup_id_x 1
		.amdhsa_system_sgpr_workgroup_id_y 0
		.amdhsa_system_sgpr_workgroup_id_z 0
		.amdhsa_system_sgpr_workgroup_info 0
		.amdhsa_system_vgpr_workitem_id 2
		.amdhsa_next_free_vgpr 52
		.amdhsa_next_free_sgpr 46
		.amdhsa_accum_offset 52
		.amdhsa_reserve_vcc 1
		.amdhsa_float_round_mode_32 0
		.amdhsa_float_round_mode_16_64 0
		.amdhsa_float_denorm_mode_32 3
		.amdhsa_float_denorm_mode_16_64 3
		.amdhsa_dx10_clamp 1
		.amdhsa_ieee_mode 1
		.amdhsa_fp16_overflow 0
		.amdhsa_tg_split 0
		.amdhsa_exception_fp_ieee_invalid_op 0
		.amdhsa_exception_fp_denorm_src 0
		.amdhsa_exception_fp_ieee_div_zero 0
		.amdhsa_exception_fp_ieee_overflow 0
		.amdhsa_exception_fp_ieee_underflow 0
		.amdhsa_exception_fp_ieee_inexact 0
		.amdhsa_exception_int_div_zero 0
	.end_amdhsa_kernel
	.section	.text._ZN7rocprim17ROCPRIM_304000_NS6detail28radix_sort_block_sort_kernelINS1_36wrapped_radix_sort_block_sort_configINS0_13kernel_configILj256ELj4ELj4294967295EEElN2at4cuda3cub6detail10OpaqueTypeILi1EEEEELb0EPKlPlPKSB_PSB_NS0_19identity_decomposerEEEvT1_T2_T3_T4_jT5_jj,"axG",@progbits,_ZN7rocprim17ROCPRIM_304000_NS6detail28radix_sort_block_sort_kernelINS1_36wrapped_radix_sort_block_sort_configINS0_13kernel_configILj256ELj4ELj4294967295EEElN2at4cuda3cub6detail10OpaqueTypeILi1EEEEELb0EPKlPlPKSB_PSB_NS0_19identity_decomposerEEEvT1_T2_T3_T4_jT5_jj,comdat
.Lfunc_end16:
	.size	_ZN7rocprim17ROCPRIM_304000_NS6detail28radix_sort_block_sort_kernelINS1_36wrapped_radix_sort_block_sort_configINS0_13kernel_configILj256ELj4ELj4294967295EEElN2at4cuda3cub6detail10OpaqueTypeILi1EEEEELb0EPKlPlPKSB_PSB_NS0_19identity_decomposerEEEvT1_T2_T3_T4_jT5_jj, .Lfunc_end16-_ZN7rocprim17ROCPRIM_304000_NS6detail28radix_sort_block_sort_kernelINS1_36wrapped_radix_sort_block_sort_configINS0_13kernel_configILj256ELj4ELj4294967295EEElN2at4cuda3cub6detail10OpaqueTypeILi1EEEEELb0EPKlPlPKSB_PSB_NS0_19identity_decomposerEEEvT1_T2_T3_T4_jT5_jj
                                        ; -- End function
	.section	.AMDGPU.csdata,"",@progbits
; Kernel info:
; codeLenInByte = 3896
; NumSgprs: 52
; NumVgprs: 52
; NumAgprs: 0
; TotalNumVgprs: 52
; ScratchSize: 0
; MemoryBound: 1
; FloatMode: 240
; IeeeMode: 1
; LDSByteSize: 8192 bytes/workgroup (compile time only)
; SGPRBlocks: 6
; VGPRBlocks: 6
; NumSGPRsForWavesPerEU: 52
; NumVGPRsForWavesPerEU: 52
; AccumOffset: 52
; Occupancy: 8
; WaveLimiterHint : 1
; COMPUTE_PGM_RSRC2:SCRATCH_EN: 0
; COMPUTE_PGM_RSRC2:USER_SGPR: 2
; COMPUTE_PGM_RSRC2:TRAP_HANDLER: 0
; COMPUTE_PGM_RSRC2:TGID_X_EN: 1
; COMPUTE_PGM_RSRC2:TGID_Y_EN: 0
; COMPUTE_PGM_RSRC2:TGID_Z_EN: 0
; COMPUTE_PGM_RSRC2:TIDIG_COMP_CNT: 2
; COMPUTE_PGM_RSRC3_GFX90A:ACCUM_OFFSET: 12
; COMPUTE_PGM_RSRC3_GFX90A:TG_SPLIT: 0
	.section	.text._ZN7rocprim17ROCPRIM_304000_NS6detail45device_block_merge_mergepath_partition_kernelINS1_37wrapped_merge_sort_block_merge_configINS0_14default_configElN2at4cuda3cub6detail10OpaqueTypeILi1EEEEEPljNS1_19radix_merge_compareILb0ELb0ElNS0_19identity_decomposerEEEEEvT0_T1_jPSH_T2_SH_,"axG",@progbits,_ZN7rocprim17ROCPRIM_304000_NS6detail45device_block_merge_mergepath_partition_kernelINS1_37wrapped_merge_sort_block_merge_configINS0_14default_configElN2at4cuda3cub6detail10OpaqueTypeILi1EEEEEPljNS1_19radix_merge_compareILb0ELb0ElNS0_19identity_decomposerEEEEEvT0_T1_jPSH_T2_SH_,comdat
	.protected	_ZN7rocprim17ROCPRIM_304000_NS6detail45device_block_merge_mergepath_partition_kernelINS1_37wrapped_merge_sort_block_merge_configINS0_14default_configElN2at4cuda3cub6detail10OpaqueTypeILi1EEEEEPljNS1_19radix_merge_compareILb0ELb0ElNS0_19identity_decomposerEEEEEvT0_T1_jPSH_T2_SH_ ; -- Begin function _ZN7rocprim17ROCPRIM_304000_NS6detail45device_block_merge_mergepath_partition_kernelINS1_37wrapped_merge_sort_block_merge_configINS0_14default_configElN2at4cuda3cub6detail10OpaqueTypeILi1EEEEEPljNS1_19radix_merge_compareILb0ELb0ElNS0_19identity_decomposerEEEEEvT0_T1_jPSH_T2_SH_
	.globl	_ZN7rocprim17ROCPRIM_304000_NS6detail45device_block_merge_mergepath_partition_kernelINS1_37wrapped_merge_sort_block_merge_configINS0_14default_configElN2at4cuda3cub6detail10OpaqueTypeILi1EEEEEPljNS1_19radix_merge_compareILb0ELb0ElNS0_19identity_decomposerEEEEEvT0_T1_jPSH_T2_SH_
	.p2align	8
	.type	_ZN7rocprim17ROCPRIM_304000_NS6detail45device_block_merge_mergepath_partition_kernelINS1_37wrapped_merge_sort_block_merge_configINS0_14default_configElN2at4cuda3cub6detail10OpaqueTypeILi1EEEEEPljNS1_19radix_merge_compareILb0ELb0ElNS0_19identity_decomposerEEEEEvT0_T1_jPSH_T2_SH_,@function
_ZN7rocprim17ROCPRIM_304000_NS6detail45device_block_merge_mergepath_partition_kernelINS1_37wrapped_merge_sort_block_merge_configINS0_14default_configElN2at4cuda3cub6detail10OpaqueTypeILi1EEEEEPljNS1_19radix_merge_compareILb0ELb0ElNS0_19identity_decomposerEEEEEvT0_T1_jPSH_T2_SH_: ; @_ZN7rocprim17ROCPRIM_304000_NS6detail45device_block_merge_mergepath_partition_kernelINS1_37wrapped_merge_sort_block_merge_configINS0_14default_configElN2at4cuda3cub6detail10OpaqueTypeILi1EEEEEPljNS1_19radix_merge_compareILb0ELb0ElNS0_19identity_decomposerEEEEEvT0_T1_jPSH_T2_SH_
; %bb.0:
	s_load_dwordx2 s[4:5], s[0:1], 0x8
	v_lshl_or_b32 v0, s2, 7, v0
	s_waitcnt lgkmcnt(0)
	v_cmp_gt_u32_e32 vcc, s5, v0
	s_and_saveexec_b64 s[2:3], vcc
	s_cbranch_execz .LBB17_6
; %bb.1:
	s_load_dword s2, s[0:1], 0x1c
	s_waitcnt lgkmcnt(0)
	s_lshr_b32 s3, s2, 9
	s_and_b32 s3, s3, 0x7ffffe
	s_add_i32 s5, s3, -1
	s_sub_i32 s3, 0, s3
	v_and_b32_e32 v1, s3, v0
	v_and_b32_e32 v2, s5, v0
	v_lshlrev_b32_e32 v1, 10, v1
	v_lshlrev_b32_e32 v3, 10, v2
	v_min_u32_e32 v2, s4, v1
	v_add_u32_e32 v1, s2, v1
	v_min_u32_e32 v4, s4, v1
	v_add_u32_e32 v1, s2, v4
	v_min_u32_e32 v1, s4, v1
	v_sub_u32_e32 v5, v1, v2
	v_min_u32_e32 v10, v5, v3
	v_sub_u32_e32 v3, v4, v2
	v_sub_u32_e32 v1, v1, v4
	v_sub_u32_e64 v1, v10, v1 clamp
	v_min_u32_e32 v11, v10, v3
	v_cmp_lt_u32_e32 vcc, v1, v11
	s_and_saveexec_b64 s[2:3], vcc
	s_cbranch_execz .LBB17_5
; %bb.2:
	s_load_dwordx2 s[4:5], s[0:1], 0x0
	v_mov_b32_e32 v5, 0
	v_mov_b32_e32 v3, v5
	s_waitcnt lgkmcnt(0)
	v_lshl_add_u64 v[6:7], v[2:3], 3, s[4:5]
	v_lshl_add_u64 v[8:9], v[4:5], 3, s[4:5]
	s_mov_b64 s[4:5], 0
.LBB17_3:                               ; =>This Inner Loop Header: Depth=1
	v_add_u32_e32 v3, v11, v1
	v_lshrrev_b32_e32 v4, 1, v3
	v_mov_b32_e32 v13, v5
	v_xad_u32 v12, v4, -1, v10
	v_lshl_add_u64 v[14:15], v[4:5], 3, v[6:7]
	v_lshl_add_u64 v[12:13], v[12:13], 3, v[8:9]
	global_load_dwordx2 v[16:17], v[14:15], off
	global_load_dwordx2 v[18:19], v[12:13], off
	v_add_u32_e32 v3, 1, v4
	s_waitcnt vmcnt(0)
	v_cmp_gt_i64_e32 vcc, v[16:17], v[18:19]
	s_nop 1
	v_cndmask_b32_e32 v11, v11, v4, vcc
	v_cndmask_b32_e32 v1, v3, v1, vcc
	v_cmp_ge_u32_e32 vcc, v1, v11
	s_or_b64 s[4:5], vcc, s[4:5]
	s_andn2_b64 exec, exec, s[4:5]
	s_cbranch_execnz .LBB17_3
; %bb.4:
	s_or_b64 exec, exec, s[4:5]
.LBB17_5:
	s_or_b64 exec, exec, s[2:3]
	s_load_dwordx2 s[0:1], s[0:1], 0x10
	v_add_u32_e32 v2, v1, v2
	v_mov_b32_e32 v1, 0
	s_waitcnt lgkmcnt(0)
	v_lshl_add_u64 v[0:1], v[0:1], 2, s[0:1]
	global_store_dword v[0:1], v2, off
.LBB17_6:
	s_endpgm
	.section	.rodata,"a",@progbits
	.p2align	6, 0x0
	.amdhsa_kernel _ZN7rocprim17ROCPRIM_304000_NS6detail45device_block_merge_mergepath_partition_kernelINS1_37wrapped_merge_sort_block_merge_configINS0_14default_configElN2at4cuda3cub6detail10OpaqueTypeILi1EEEEEPljNS1_19radix_merge_compareILb0ELb0ElNS0_19identity_decomposerEEEEEvT0_T1_jPSH_T2_SH_
		.amdhsa_group_segment_fixed_size 0
		.amdhsa_private_segment_fixed_size 0
		.amdhsa_kernarg_size 32
		.amdhsa_user_sgpr_count 2
		.amdhsa_user_sgpr_dispatch_ptr 0
		.amdhsa_user_sgpr_queue_ptr 0
		.amdhsa_user_sgpr_kernarg_segment_ptr 1
		.amdhsa_user_sgpr_dispatch_id 0
		.amdhsa_user_sgpr_kernarg_preload_length 0
		.amdhsa_user_sgpr_kernarg_preload_offset 0
		.amdhsa_user_sgpr_private_segment_size 0
		.amdhsa_uses_dynamic_stack 0
		.amdhsa_enable_private_segment 0
		.amdhsa_system_sgpr_workgroup_id_x 1
		.amdhsa_system_sgpr_workgroup_id_y 0
		.amdhsa_system_sgpr_workgroup_id_z 0
		.amdhsa_system_sgpr_workgroup_info 0
		.amdhsa_system_vgpr_workitem_id 0
		.amdhsa_next_free_vgpr 20
		.amdhsa_next_free_sgpr 6
		.amdhsa_accum_offset 20
		.amdhsa_reserve_vcc 1
		.amdhsa_float_round_mode_32 0
		.amdhsa_float_round_mode_16_64 0
		.amdhsa_float_denorm_mode_32 3
		.amdhsa_float_denorm_mode_16_64 3
		.amdhsa_dx10_clamp 1
		.amdhsa_ieee_mode 1
		.amdhsa_fp16_overflow 0
		.amdhsa_tg_split 0
		.amdhsa_exception_fp_ieee_invalid_op 0
		.amdhsa_exception_fp_denorm_src 0
		.amdhsa_exception_fp_ieee_div_zero 0
		.amdhsa_exception_fp_ieee_overflow 0
		.amdhsa_exception_fp_ieee_underflow 0
		.amdhsa_exception_fp_ieee_inexact 0
		.amdhsa_exception_int_div_zero 0
	.end_amdhsa_kernel
	.section	.text._ZN7rocprim17ROCPRIM_304000_NS6detail45device_block_merge_mergepath_partition_kernelINS1_37wrapped_merge_sort_block_merge_configINS0_14default_configElN2at4cuda3cub6detail10OpaqueTypeILi1EEEEEPljNS1_19radix_merge_compareILb0ELb0ElNS0_19identity_decomposerEEEEEvT0_T1_jPSH_T2_SH_,"axG",@progbits,_ZN7rocprim17ROCPRIM_304000_NS6detail45device_block_merge_mergepath_partition_kernelINS1_37wrapped_merge_sort_block_merge_configINS0_14default_configElN2at4cuda3cub6detail10OpaqueTypeILi1EEEEEPljNS1_19radix_merge_compareILb0ELb0ElNS0_19identity_decomposerEEEEEvT0_T1_jPSH_T2_SH_,comdat
.Lfunc_end17:
	.size	_ZN7rocprim17ROCPRIM_304000_NS6detail45device_block_merge_mergepath_partition_kernelINS1_37wrapped_merge_sort_block_merge_configINS0_14default_configElN2at4cuda3cub6detail10OpaqueTypeILi1EEEEEPljNS1_19radix_merge_compareILb0ELb0ElNS0_19identity_decomposerEEEEEvT0_T1_jPSH_T2_SH_, .Lfunc_end17-_ZN7rocprim17ROCPRIM_304000_NS6detail45device_block_merge_mergepath_partition_kernelINS1_37wrapped_merge_sort_block_merge_configINS0_14default_configElN2at4cuda3cub6detail10OpaqueTypeILi1EEEEEPljNS1_19radix_merge_compareILb0ELb0ElNS0_19identity_decomposerEEEEEvT0_T1_jPSH_T2_SH_
                                        ; -- End function
	.section	.AMDGPU.csdata,"",@progbits
; Kernel info:
; codeLenInByte = 320
; NumSgprs: 12
; NumVgprs: 20
; NumAgprs: 0
; TotalNumVgprs: 20
; ScratchSize: 0
; MemoryBound: 0
; FloatMode: 240
; IeeeMode: 1
; LDSByteSize: 0 bytes/workgroup (compile time only)
; SGPRBlocks: 1
; VGPRBlocks: 2
; NumSGPRsForWavesPerEU: 12
; NumVGPRsForWavesPerEU: 20
; AccumOffset: 20
; Occupancy: 8
; WaveLimiterHint : 0
; COMPUTE_PGM_RSRC2:SCRATCH_EN: 0
; COMPUTE_PGM_RSRC2:USER_SGPR: 2
; COMPUTE_PGM_RSRC2:TRAP_HANDLER: 0
; COMPUTE_PGM_RSRC2:TGID_X_EN: 1
; COMPUTE_PGM_RSRC2:TGID_Y_EN: 0
; COMPUTE_PGM_RSRC2:TGID_Z_EN: 0
; COMPUTE_PGM_RSRC2:TIDIG_COMP_CNT: 0
; COMPUTE_PGM_RSRC3_GFX90A:ACCUM_OFFSET: 4
; COMPUTE_PGM_RSRC3_GFX90A:TG_SPLIT: 0
	.section	.text._ZN7rocprim17ROCPRIM_304000_NS6detail35device_block_merge_mergepath_kernelINS1_37wrapped_merge_sort_block_merge_configINS0_14default_configElN2at4cuda3cub6detail10OpaqueTypeILi1EEEEEPlSC_PSA_SD_jNS1_19radix_merge_compareILb0ELb0ElNS0_19identity_decomposerEEEEEvT0_T1_T2_T3_T4_SL_jT5_PKSL_NS1_7vsmem_tE,"axG",@progbits,_ZN7rocprim17ROCPRIM_304000_NS6detail35device_block_merge_mergepath_kernelINS1_37wrapped_merge_sort_block_merge_configINS0_14default_configElN2at4cuda3cub6detail10OpaqueTypeILi1EEEEEPlSC_PSA_SD_jNS1_19radix_merge_compareILb0ELb0ElNS0_19identity_decomposerEEEEEvT0_T1_T2_T3_T4_SL_jT5_PKSL_NS1_7vsmem_tE,comdat
	.protected	_ZN7rocprim17ROCPRIM_304000_NS6detail35device_block_merge_mergepath_kernelINS1_37wrapped_merge_sort_block_merge_configINS0_14default_configElN2at4cuda3cub6detail10OpaqueTypeILi1EEEEEPlSC_PSA_SD_jNS1_19radix_merge_compareILb0ELb0ElNS0_19identity_decomposerEEEEEvT0_T1_T2_T3_T4_SL_jT5_PKSL_NS1_7vsmem_tE ; -- Begin function _ZN7rocprim17ROCPRIM_304000_NS6detail35device_block_merge_mergepath_kernelINS1_37wrapped_merge_sort_block_merge_configINS0_14default_configElN2at4cuda3cub6detail10OpaqueTypeILi1EEEEEPlSC_PSA_SD_jNS1_19radix_merge_compareILb0ELb0ElNS0_19identity_decomposerEEEEEvT0_T1_T2_T3_T4_SL_jT5_PKSL_NS1_7vsmem_tE
	.globl	_ZN7rocprim17ROCPRIM_304000_NS6detail35device_block_merge_mergepath_kernelINS1_37wrapped_merge_sort_block_merge_configINS0_14default_configElN2at4cuda3cub6detail10OpaqueTypeILi1EEEEEPlSC_PSA_SD_jNS1_19radix_merge_compareILb0ELb0ElNS0_19identity_decomposerEEEEEvT0_T1_T2_T3_T4_SL_jT5_PKSL_NS1_7vsmem_tE
	.p2align	8
	.type	_ZN7rocprim17ROCPRIM_304000_NS6detail35device_block_merge_mergepath_kernelINS1_37wrapped_merge_sort_block_merge_configINS0_14default_configElN2at4cuda3cub6detail10OpaqueTypeILi1EEEEEPlSC_PSA_SD_jNS1_19radix_merge_compareILb0ELb0ElNS0_19identity_decomposerEEEEEvT0_T1_T2_T3_T4_SL_jT5_PKSL_NS1_7vsmem_tE,@function
_ZN7rocprim17ROCPRIM_304000_NS6detail35device_block_merge_mergepath_kernelINS1_37wrapped_merge_sort_block_merge_configINS0_14default_configElN2at4cuda3cub6detail10OpaqueTypeILi1EEEEEPlSC_PSA_SD_jNS1_19radix_merge_compareILb0ELb0ElNS0_19identity_decomposerEEEEEvT0_T1_T2_T3_T4_SL_jT5_PKSL_NS1_7vsmem_tE: ; @_ZN7rocprim17ROCPRIM_304000_NS6detail35device_block_merge_mergepath_kernelINS1_37wrapped_merge_sort_block_merge_configINS0_14default_configElN2at4cuda3cub6detail10OpaqueTypeILi1EEEEEPlSC_PSA_SD_jNS1_19radix_merge_compareILb0ELb0ElNS0_19identity_decomposerEEEEEvT0_T1_T2_T3_T4_SL_jT5_PKSL_NS1_7vsmem_tE
; %bb.0:
	s_load_dwordx2 s[26:27], s[0:1], 0x40
	s_load_dwordx4 s[12:15], s[0:1], 0x20
	s_add_u32 s24, s0, 64
	s_addc_u32 s25, s1, 0
	s_waitcnt lgkmcnt(0)
	s_mul_i32 s4, s27, s4
	s_add_i32 s3, s4, s3
	s_mul_i32 s3, s3, s26
	s_add_i32 s22, s3, s2
	s_cmp_ge_u32 s22, s14
	s_cbranch_scc1 .LBB18_69
; %bb.1:
	s_load_dwordx8 s[4:11], s[0:1], 0x0
	s_load_dwordx2 s[14:15], s[0:1], 0x30
	s_lshr_b32 s27, s12, 10
	s_cmp_lg_u32 s22, s27
	s_mov_b32 s23, 0
	s_cselect_b64 s[16:17], -1, 0
	s_lshl_b64 s[0:1], s[22:23], 2
	s_waitcnt lgkmcnt(0)
	s_add_u32 s0, s14, s0
	s_addc_u32 s1, s15, s1
	s_load_dwordx2 s[18:19], s[0:1], 0x0
	s_lshr_b32 s0, s13, 9
	s_and_b32 s0, s0, 0x7ffffe
	s_sub_i32 s0, 0, s0
	s_and_b32 s1, s22, s0
	s_lshl_b32 s3, s1, 10
	s_lshl_b32 s14, s22, 10
	;; [unrolled: 1-line block ×3, first 2 shown]
	s_sub_i32 s15, s14, s3
	s_add_i32 s1, s1, s13
	s_add_i32 s15, s1, s15
	s_waitcnt lgkmcnt(0)
	s_sub_i32 s20, s15, s18
	s_sub_i32 s15, s15, s19
	;; [unrolled: 1-line block ×3, first 2 shown]
	s_min_u32 s20, s12, s20
	s_addk_i32 s15, 0x400
	s_or_b32 s0, s22, s0
	s_min_u32 s3, s12, s1
	s_add_i32 s1, s1, s13
	s_cmp_eq_u32 s0, -1
	s_cselect_b32 s0, s1, s15
	s_cselect_b32 s1, s3, s19
	s_min_u32 s0, s0, s12
	s_mov_b32 s19, s23
	s_sub_i32 s15, s1, s18
	s_sub_i32 s28, s0, s20
	s_lshl_b64 s[0:1], s[18:19], 3
	s_add_u32 s0, s4, s0
	s_mov_b32 s21, s23
	s_addc_u32 s1, s5, s1
	s_lshl_b64 s[30:31], s[20:21], 3
	s_add_u32 s4, s4, s30
	s_addc_u32 s5, s5, s31
	s_cmp_lt_u32 s2, s26
	v_mov_b32_e32 v11, 0
	s_cselect_b32 s2, 12, 18
	global_load_dword v1, v11, s[24:25] offset:14
	s_add_u32 s2, s24, s2
	s_addc_u32 s3, s25, 0
	global_load_ushort v2, v11, s[2:3]
	v_cmp_gt_u32_e32 vcc, s15, v0
	s_cmp_eq_u32 s22, s27
	v_lshlrev_b32_e32 v10, 3, v0
	s_waitcnt vmcnt(1)
	v_lshrrev_b32_e32 v3, 16, v1
	v_and_b32_e32 v1, 0xffff, v1
	v_mul_lo_u32 v1, v1, v3
	s_waitcnt vmcnt(0)
	v_mul_lo_u32 v1, v1, v2
	v_add_u32_e32 v14, v1, v0
	v_add_u32_e32 v12, v14, v1
	s_cbranch_scc1 .LBB18_3
; %bb.2:
	v_subrev_u32_e32 v4, s15, v0
	v_mov_b32_e32 v5, v11
	v_lshl_add_u64 v[2:3], s[0:1], 0, v[10:11]
	v_lshl_add_u64 v[4:5], v[4:5], 3, s[4:5]
	v_mov_b32_e32 v15, v11
	v_subrev_u32_e32 v6, s15, v14
	v_mov_b32_e32 v7, v11
	v_cndmask_b32_e32 v3, v5, v3, vcc
	v_cndmask_b32_e32 v2, v4, v2, vcc
	v_lshl_add_u64 v[4:5], v[14:15], 3, s[0:1]
	v_lshl_add_u64 v[6:7], v[6:7], 3, s[4:5]
	v_cmp_gt_u32_e32 vcc, s15, v14
	v_mov_b32_e32 v13, v11
	v_subrev_u32_e32 v8, s15, v12
	v_mov_b32_e32 v9, v11
	v_cndmask_b32_e32 v5, v7, v5, vcc
	v_cndmask_b32_e32 v4, v6, v4, vcc
	v_lshl_add_u64 v[6:7], v[12:13], 3, s[0:1]
	v_lshl_add_u64 v[8:9], v[8:9], 3, s[4:5]
	v_cmp_gt_u32_e32 vcc, s15, v12
	v_mov_b32_e32 v19, v11
	global_load_dwordx2 v[2:3], v[2:3], off
	v_cndmask_b32_e32 v6, v8, v6, vcc
	v_add_u32_e32 v8, v12, v1
	v_cndmask_b32_e32 v7, v9, v7, vcc
	v_mov_b32_e32 v9, v11
	v_subrev_u32_e32 v18, s15, v8
	v_lshl_add_u64 v[16:17], v[8:9], 3, s[0:1]
	v_lshl_add_u64 v[18:19], v[18:19], 3, s[4:5]
	v_cmp_gt_u32_e32 vcc, s15, v8
	global_load_dwordx2 v[4:5], v[4:5], off
	s_add_i32 s13, s28, s15
	v_cndmask_b32_e32 v9, v19, v17, vcc
	v_cndmask_b32_e32 v8, v18, v16, vcc
	global_load_dwordx2 v[6:7], v[6:7], off
	s_nop 0
	global_load_dwordx2 v[8:9], v[8:9], off
	s_cbranch_execz .LBB18_4
	s_branch .LBB18_11
.LBB18_3:
                                        ; implicit-def: $vgpr2_vgpr3_vgpr4_vgpr5_vgpr6_vgpr7_vgpr8_vgpr9
                                        ; implicit-def: $sgpr13
.LBB18_4:
	s_add_i32 s13, s28, s15
	v_cmp_gt_u32_e32 vcc, s13, v0
                                        ; implicit-def: $vgpr2_vgpr3_vgpr4_vgpr5_vgpr6_vgpr7_vgpr8_vgpr9
	s_and_saveexec_b64 s[2:3], vcc
	s_cbranch_execnz .LBB18_70
; %bb.5:
	s_or_b64 exec, exec, s[2:3]
	v_cmp_gt_u32_e32 vcc, s13, v14
	s_and_saveexec_b64 s[2:3], vcc
	s_cbranch_execnz .LBB18_71
.LBB18_6:
	s_or_b64 exec, exec, s[2:3]
	v_cmp_gt_u32_e32 vcc, s13, v12
	s_and_saveexec_b64 s[2:3], vcc
	s_cbranch_execz .LBB18_8
.LBB18_7:
	v_mov_b32_e32 v13, 0
	v_subrev_u32_e32 v14, s15, v12
	v_mov_b32_e32 v15, v13
	s_waitcnt vmcnt(1)
	v_lshl_add_u64 v[6:7], v[12:13], 3, s[0:1]
	v_lshl_add_u64 v[14:15], v[14:15], 3, s[4:5]
	v_cmp_gt_u32_e32 vcc, s15, v12
	s_nop 1
	v_cndmask_b32_e32 v7, v15, v7, vcc
	v_cndmask_b32_e32 v6, v14, v6, vcc
	global_load_dwordx2 v[6:7], v[6:7], off
.LBB18_8:
	s_or_b64 exec, exec, s[2:3]
	v_add_u32_e32 v12, v12, v1
	v_cmp_gt_u32_e32 vcc, s13, v12
	s_and_saveexec_b64 s[2:3], vcc
	s_cbranch_execz .LBB18_10
; %bb.9:
	v_mov_b32_e32 v13, 0
	s_waitcnt vmcnt(0)
	v_lshl_add_u64 v[8:9], v[12:13], 3, s[0:1]
	v_cmp_gt_u32_e32 vcc, s15, v12
	v_subrev_u32_e32 v12, s15, v12
	v_lshl_add_u64 v[12:13], v[12:13], 3, s[4:5]
	v_cndmask_b32_e32 v9, v13, v9, vcc
	v_cndmask_b32_e32 v8, v12, v8, vcc
	global_load_dwordx2 v[8:9], v[8:9], off
.LBB18_10:
	s_or_b64 exec, exec, s[2:3]
.LBB18_11:
	v_lshlrev_b32_e32 v11, 2, v0
	v_min_u32_e32 v12, s13, v11
	v_sub_u32_e64 v1, v12, s28 clamp
	v_min_u32_e32 v13, s15, v12
	v_cmp_lt_u32_e32 vcc, v1, v13
	s_waitcnt vmcnt(0)
	ds_write2st64_b64 v10, v[2:3], v[4:5] offset1:4
	ds_write2st64_b64 v10, v[6:7], v[8:9] offset0:8 offset1:12
	s_waitcnt lgkmcnt(0)
	s_barrier
	s_and_saveexec_b64 s[0:1], vcc
	s_cbranch_execz .LBB18_15
; %bb.12:
	v_lshlrev_b32_e32 v14, 3, v12
	v_lshl_add_u32 v14, s15, 3, v14
	s_mov_b64 s[2:3], 0
.LBB18_13:                              ; =>This Inner Loop Header: Depth=1
	v_add_u32_e32 v15, v13, v1
	v_lshrrev_b32_e32 v15, 1, v15
	v_not_b32_e32 v16, v15
	v_lshlrev_b32_e32 v17, 3, v15
	v_lshl_add_u32 v18, v16, 3, v14
	ds_read_b64 v[16:17], v17
	ds_read_b64 v[18:19], v18
	v_add_u32_e32 v20, 1, v15
	s_waitcnt lgkmcnt(0)
	v_cmp_gt_i64_e32 vcc, v[16:17], v[18:19]
	s_nop 1
	v_cndmask_b32_e32 v13, v13, v15, vcc
	v_cndmask_b32_e32 v1, v20, v1, vcc
	v_cmp_ge_u32_e32 vcc, v1, v13
	s_or_b64 s[2:3], vcc, s[2:3]
	s_andn2_b64 exec, exec, s[2:3]
	s_cbranch_execnz .LBB18_13
; %bb.14:
	s_or_b64 exec, exec, s[2:3]
.LBB18_15:
	s_or_b64 exec, exec, s[0:1]
	v_sub_u32_e32 v12, v12, v1
	v_add_u32_e32 v12, s15, v12
	v_cmp_ge_u32_e32 vcc, s15, v1
	v_cmp_ge_u32_e64 s[0:1], s13, v12
	s_or_b64 s[0:1], vcc, s[0:1]
                                        ; implicit-def: $vgpr19
                                        ; implicit-def: $vgpr21
                                        ; implicit-def: $vgpr20
                                        ; implicit-def: $vgpr18
	s_and_saveexec_b64 s[22:23], s[0:1]
	s_cbranch_execz .LBB18_21
; %bb.16:
	v_cmp_gt_u32_e32 vcc, s15, v1
                                        ; implicit-def: $vgpr2_vgpr3
	s_and_saveexec_b64 s[0:1], vcc
	s_cbranch_execz .LBB18_18
; %bb.17:
	v_lshlrev_b32_e32 v2, 3, v1
	ds_read_b64 v[2:3], v2
.LBB18_18:
	s_or_b64 exec, exec, s[0:1]
	v_cmp_le_u32_e64 s[0:1], s13, v12
	v_cmp_gt_u32_e64 s[2:3], s13, v12
                                        ; implicit-def: $vgpr4_vgpr5
	s_and_saveexec_b64 s[4:5], s[2:3]
	s_cbranch_execz .LBB18_20
; %bb.19:
	v_lshlrev_b32_e32 v4, 3, v12
	ds_read_b64 v[4:5], v4
.LBB18_20:
	s_or_b64 exec, exec, s[4:5]
	s_waitcnt lgkmcnt(0)
	v_cmp_le_i64_e64 s[2:3], v[2:3], v[4:5]
	s_and_b64 s[2:3], vcc, s[2:3]
	s_or_b64 vcc, s[0:1], s[2:3]
	v_mov_b32_e32 v16, s13
	v_mov_b32_e32 v17, s15
	v_cndmask_b32_e32 v18, v12, v1, vcc
	v_cndmask_b32_e32 v6, v16, v17, vcc
	v_add_u32_e32 v13, 1, v18
	v_add_u32_e32 v6, -1, v6
	v_min_u32_e32 v6, v13, v6
	v_lshlrev_b32_e32 v6, 3, v6
	ds_read_b64 v[6:7], v6
	v_cndmask_b32_e32 v1, v1, v13, vcc
	v_cndmask_b32_e32 v19, v13, v12, vcc
	v_cmp_gt_u32_e64 s[2:3], s15, v1
	v_cmp_le_u32_e64 s[0:1], s13, v19
	s_waitcnt lgkmcnt(0)
	v_cndmask_b32_e32 v9, v7, v5, vcc
	v_cndmask_b32_e32 v8, v6, v4, vcc
	;; [unrolled: 1-line block ×4, first 2 shown]
	v_cmp_le_i64_e64 s[4:5], v[6:7], v[8:9]
	s_and_b64 s[2:3], s[2:3], s[4:5]
	s_or_b64 s[0:1], s[0:1], s[2:3]
	v_cndmask_b32_e64 v20, v19, v1, s[0:1]
	v_cndmask_b32_e64 v12, v16, v17, s[0:1]
	v_add_u32_e32 v21, 1, v20
	v_add_u32_e32 v12, -1, v12
	v_min_u32_e32 v12, v21, v12
	v_lshlrev_b32_e32 v12, 3, v12
	ds_read_b64 v[12:13], v12
	v_cndmask_b32_e64 v1, v1, v21, s[0:1]
	v_cndmask_b32_e64 v19, v21, v19, s[0:1]
	v_cmp_gt_u32_e64 s[2:3], s15, v1
	v_cndmask_b32_e32 v3, v5, v3, vcc
	s_waitcnt lgkmcnt(0)
	v_cndmask_b32_e64 v15, v13, v9, s[0:1]
	v_cndmask_b32_e64 v14, v12, v8, s[0:1]
	;; [unrolled: 1-line block ×4, first 2 shown]
	v_cmp_le_i64_e64 s[4:5], v[12:13], v[14:15]
	v_cndmask_b32_e32 v2, v4, v2, vcc
	v_cmp_le_u32_e32 vcc, s13, v19
	s_and_b64 s[2:3], s[2:3], s[4:5]
	s_or_b64 vcc, vcc, s[2:3]
	v_cndmask_b32_e32 v21, v19, v1, vcc
	v_cndmask_b32_e32 v4, v16, v17, vcc
	v_add_u32_e32 v22, 1, v21
	v_add_u32_e32 v4, -1, v4
	v_min_u32_e32 v4, v22, v4
	v_lshlrev_b32_e32 v4, 3, v4
	ds_read_b64 v[16:17], v4
	v_cndmask_b32_e64 v5, v9, v7, s[0:1]
	v_cndmask_b32_e64 v4, v8, v6, s[0:1]
	v_cndmask_b32_e32 v7, v15, v13, vcc
	v_cndmask_b32_e32 v6, v14, v12, vcc
	s_waitcnt lgkmcnt(0)
	v_cndmask_b32_e32 v9, v17, v15, vcc
	v_cndmask_b32_e32 v8, v16, v14, vcc
	;; [unrolled: 1-line block ×6, first 2 shown]
	v_cmp_gt_u32_e64 s[0:1], s15, v1
	v_cmp_le_i64_e64 s[2:3], v[12:13], v[8:9]
	v_cmp_le_u32_e32 vcc, s13, v14
	s_and_b64 s[0:1], s[0:1], s[2:3]
	s_or_b64 vcc, vcc, s[0:1]
	v_cndmask_b32_e32 v19, v14, v1, vcc
	v_cndmask_b32_e32 v9, v9, v13, vcc
	;; [unrolled: 1-line block ×3, first 2 shown]
.LBB18_21:
	s_or_b64 exec, exec, s[22:23]
	s_add_u32 s24, s8, s18
	s_addc_u32 s25, s9, 0
	v_mov_b32_e32 v1, 0
	s_add_u32 s22, s8, s20
	v_cndmask_b32_e64 v12, 0, 1, s[16:17]
	s_addc_u32 s23, s9, 0
	v_cmp_gt_u32_e64 s[4:5], s15, v0
	v_cmp_le_u32_e64 s[2:3], s15, v0
	v_cmp_ne_u32_e64 s[0:1], 1, v12
	s_andn2_b64 vcc, exec, s[16:17]
	v_lshl_add_u64 v[12:13], s[24:25], 0, v[0:1]
	s_barrier
	s_cbranch_vccnz .LBB18_23
; %bb.22:
	v_subrev_u32_e32 v14, s15, v0
	v_mov_b32_e32 v15, v1
	v_lshl_add_u64 v[14:15], s[22:23], 0, v[14:15]
	v_lshl_add_u64 v[22:23], s[24:25], 0, v[0:1]
	v_or_b32_e32 v25, 0x100, v0
	v_cndmask_b32_e64 v15, v15, v23, s[4:5]
	v_cndmask_b32_e64 v14, v14, v22, s[4:5]
	s_mov_b64 s[4:5], 0x100
	v_subrev_u32_e32 v16, s15, v25
	v_mov_b32_e32 v17, v1
	global_load_ubyte v24, v[14:15], off
	v_lshl_add_u64 v[14:15], v[22:23], 0, s[4:5]
	v_lshl_add_u64 v[16:17], s[22:23], 0, v[16:17]
	v_cmp_gt_u32_e32 vcc, s15, v25
	v_or_b32_e32 v26, 0x200, v0
	s_mov_b64 s[4:5], 0x200
	v_cndmask_b32_e32 v15, v17, v15, vcc
	v_cndmask_b32_e32 v14, v16, v14, vcc
	v_subrev_u32_e32 v16, s15, v26
	v_mov_b32_e32 v17, v1
	global_load_ubyte v25, v[14:15], off
	v_lshl_add_u64 v[14:15], v[22:23], 0, s[4:5]
	v_lshl_add_u64 v[16:17], s[22:23], 0, v[16:17]
	v_cmp_gt_u32_e32 vcc, s15, v26
	s_mov_b64 s[4:5], 0x300
	v_lshl_add_u64 v[22:23], v[22:23], 0, s[4:5]
	v_cndmask_b32_e32 v15, v17, v15, vcc
	v_cndmask_b32_e32 v14, v16, v14, vcc
	global_load_ubyte v17, v[14:15], off
	v_or_b32_e32 v16, 0x300, v0
	v_mov_b32_e32 v15, v1
	v_subrev_u32_e32 v14, s15, v16
	v_lshl_add_u64 v[14:15], s[22:23], 0, v[14:15]
	v_cmp_gt_u32_e32 vcc, s15, v16
	s_mov_b64 s[4:5], -1
	s_nop 0
	v_cndmask_b32_e32 v15, v15, v23, vcc
	v_cndmask_b32_e32 v14, v14, v22, vcc
	s_waitcnt vmcnt(2)
	ds_write_b8 v0, v24
	s_waitcnt vmcnt(1)
	ds_write_b8 v0, v25 offset:256
	s_waitcnt vmcnt(0)
	ds_write_b8 v0, v17 offset:512
	s_cbranch_execz .LBB18_24
	s_branch .LBB18_43
.LBB18_23:
	s_mov_b64 s[4:5], 0
                                        ; implicit-def: $vgpr16
                                        ; implicit-def: $vgpr14_vgpr15
.LBB18_24:
	s_mov_b64 s[24:25], 0
                                        ; implicit-def: $vgpr14_vgpr15
	s_and_saveexec_b64 s[26:27], s[2:3]
	s_xor_b64 s[2:3], exec, s[26:27]
	s_cbranch_execnz .LBB18_72
; %bb.25:
	s_andn2_saveexec_b64 s[2:3], s[2:3]
	s_cbranch_execnz .LBB18_75
.LBB18_26:
	s_or_b64 exec, exec, s[2:3]
	s_and_saveexec_b64 s[2:3], s[24:25]
	s_cbranch_execz .LBB18_28
.LBB18_27:
	global_load_ubyte v1, v[14:15], off
	s_waitcnt vmcnt(0)
	ds_write_b8 v0, v1
.LBB18_28:
	s_or_b64 exec, exec, s[2:3]
	v_or_b32_e32 v14, 0x100, v0
	v_cmp_le_u32_e32 vcc, s15, v14
	s_mov_b64 s[2:3], -1
	v_mov_b64_e32 v[16:17], s[18:19]
	s_and_saveexec_b64 s[24:25], vcc
; %bb.29:
	v_subrev_u32_e32 v14, s15, v14
	v_cmp_gt_u32_e32 vcc, s28, v14
	v_mov_b64_e32 v[16:17], s[20:21]
	s_orn2_b64 s[2:3], vcc, exec
; %bb.30:
	s_or_b64 exec, exec, s[24:25]
	s_and_saveexec_b64 s[24:25], s[2:3]
	s_cbranch_execz .LBB18_32
; %bb.31:
	v_lshl_add_u64 v[16:17], s[8:9], 0, v[16:17]
	v_mov_b32_e32 v15, 0
	v_lshl_add_u64 v[14:15], v[16:17], 0, v[14:15]
	global_load_ubyte v1, v[14:15], off
	s_waitcnt vmcnt(0)
	ds_write_b8 v0, v1 offset:256
.LBB18_32:
	s_or_b64 exec, exec, s[24:25]
	v_or_b32_e32 v14, 0x200, v0
	v_cmp_le_u32_e32 vcc, s15, v14
	s_mov_b64 s[2:3], -1
	v_mov_b64_e32 v[16:17], s[18:19]
	s_and_saveexec_b64 s[18:19], vcc
; %bb.33:
	v_subrev_u32_e32 v14, s15, v14
	v_cmp_gt_u32_e32 vcc, s28, v14
	v_mov_b64_e32 v[16:17], s[20:21]
	s_orn2_b64 s[2:3], vcc, exec
; %bb.34:
	s_or_b64 exec, exec, s[18:19]
	s_and_saveexec_b64 s[18:19], s[2:3]
	s_cbranch_execz .LBB18_36
; %bb.35:
	v_lshl_add_u64 v[16:17], s[8:9], 0, v[16:17]
	v_mov_b32_e32 v15, 0
	v_lshl_add_u64 v[14:15], v[16:17], 0, v[14:15]
	global_load_ubyte v1, v[14:15], off
	s_waitcnt vmcnt(0)
	ds_write_b8 v0, v1 offset:512
.LBB18_36:
	s_or_b64 exec, exec, s[18:19]
	v_or_b32_e32 v1, 0x300, v0
	v_cmp_le_u32_e32 vcc, s15, v1
                                        ; implicit-def: $vgpr16
                                        ; implicit-def: $vgpr14_vgpr15
	s_and_saveexec_b64 s[2:3], vcc
	s_xor_b64 s[2:3], exec, s[2:3]
	s_cbranch_execz .LBB18_40
; %bb.37:
	v_subrev_u32_e32 v12, s15, v1
	v_cmp_gt_u32_e32 vcc, s28, v12
	s_mov_b64 s[8:9], s[4:5]
                                        ; implicit-def: $vgpr16
                                        ; implicit-def: $vgpr14_vgpr15
	s_and_saveexec_b64 s[18:19], vcc
; %bb.38:
	v_mov_b32_e32 v13, 0
	v_or_b32_e32 v16, 0x300, v0
	v_lshl_add_u64 v[14:15], s[22:23], 0, v[12:13]
	s_or_b64 s[8:9], s[4:5], exec
; %bb.39:
	s_or_b64 exec, exec, s[18:19]
	s_andn2_b64 s[4:5], s[4:5], exec
	s_and_b64 s[8:9], s[8:9], exec
	s_or_b64 s[4:5], s[4:5], s[8:9]
                                        ; implicit-def: $vgpr12_vgpr13
.LBB18_40:
	s_andn2_saveexec_b64 s[2:3], s[2:3]
; %bb.41:
	s_mov_b64 s[8:9], 0x300
	v_lshl_add_u64 v[14:15], v[12:13], 0, s[8:9]
	v_or_b32_e32 v16, 0x300, v0
	s_or_b64 s[4:5], s[4:5], exec
; %bb.42:
	s_or_b64 exec, exec, s[2:3]
.LBB18_43:
	s_and_saveexec_b64 s[2:3], s[4:5]
	s_cbranch_execz .LBB18_45
; %bb.44:
	global_load_ubyte v1, v[14:15], off
	s_waitcnt vmcnt(0)
	ds_write_b8 v16, v1
.LBB18_45:
	s_or_b64 exec, exec, s[2:3]
	s_and_b64 vcc, exec, s[0:1]
	v_add_u32_e32 v12, s14, v11
	s_waitcnt lgkmcnt(0)
	s_barrier
	s_cbranch_vccnz .LBB18_47
; %bb.46:
	ds_read_u8 v1, v20
	ds_read_u8 v14, v21
	;; [unrolled: 1-line block ×3, first 2 shown]
	v_mov_b32_e32 v13, 0
	s_waitcnt lgkmcnt(2)
	v_lshlrev_b16_e32 v1, 8, v1
	s_mov_b64 s[0:1], -1
	s_waitcnt lgkmcnt(0)
	v_or_b32_e32 v1, v15, v1
	global_store_byte v12, v14, s[10:11] offset:2
	global_store_short v12, v1, s[10:11]
	s_cbranch_execz .LBB18_48
	s_branch .LBB18_57
.LBB18_47:
	s_mov_b64 s[0:1], 0
.LBB18_48:
	v_cmp_gt_u32_e32 vcc, s13, v11
	s_and_saveexec_b64 s[2:3], vcc
	s_cbranch_execz .LBB18_50
; %bb.49:
	ds_read_u8 v1, v18
	s_waitcnt lgkmcnt(0)
	global_store_byte v12, v1, s[10:11]
.LBB18_50:
	s_or_b64 exec, exec, s[2:3]
	v_or_b32_e32 v1, 1, v11
	v_cmp_gt_u32_e32 vcc, s13, v1
	s_and_saveexec_b64 s[2:3], vcc
	s_cbranch_execz .LBB18_52
; %bb.51:
	ds_read_u8 v1, v20
	s_waitcnt lgkmcnt(0)
	global_store_byte v12, v1, s[10:11] offset:1
.LBB18_52:
	s_or_b64 exec, exec, s[2:3]
	v_or_b32_e32 v1, 2, v11
	v_cmp_gt_u32_e32 vcc, s13, v1
	s_and_saveexec_b64 s[2:3], vcc
	s_cbranch_execz .LBB18_54
; %bb.53:
	ds_read_u8 v1, v21
	s_waitcnt lgkmcnt(0)
	global_store_byte v12, v1, s[10:11] offset:2
.LBB18_54:
	s_or_b64 exec, exec, s[2:3]
	v_or_b32_e32 v1, 3, v11
	v_cmp_gt_u32_e32 vcc, s13, v1
	s_and_saveexec_b64 s[2:3], vcc
; %bb.55:
	v_mov_b32_e32 v13, 0
	s_or_b64 s[0:1], s[0:1], exec
; %bb.56:
	s_or_b64 exec, exec, s[2:3]
.LBB18_57:
	s_and_saveexec_b64 s[2:3], s[0:1]
	s_cbranch_execz .LBB18_59
; %bb.58:
	ds_read_u8 v1, v19
	v_lshl_add_u64 v[12:13], s[10:11], 0, v[12:13]
	s_waitcnt lgkmcnt(0)
	global_store_byte v[12:13], v1, off offset:3
.LBB18_59:
	s_or_b64 exec, exec, s[2:3]
	v_and_b32_e32 v1, 0xf8, v0
	v_lshl_add_u32 v1, v11, 3, v1
	s_barrier
	s_barrier
	ds_write2_b64 v1, v[2:3], v[4:5] offset1:1
	ds_write2_b64 v1, v[6:7], v[8:9] offset0:2 offset1:3
	v_lshrrev_b32_e32 v1, 2, v0
	v_and_b32_e32 v1, 56, v1
	v_or_b32_e32 v12, 0x100, v0
	v_add_u32_e32 v13, v10, v1
	v_lshrrev_b32_e32 v1, 2, v12
	v_and_b32_e32 v1, 0x78, v1
	v_or_b32_e32 v11, 0x200, v0
	v_add_u32_e32 v6, v10, v1
	v_lshrrev_b32_e32 v1, 2, v11
	v_and_b32_e32 v1, 0xb8, v1
	s_mov_b32 s15, 0
	v_add_u32_e32 v7, v10, v1
	v_or_b32_e32 v1, 0x300, v0
	s_lshl_b64 s[0:1], s[14:15], 3
	v_lshrrev_b32_e32 v2, 2, v1
	s_add_u32 s0, s6, s0
	v_and_b32_e32 v2, 0xf8, v2
	s_addc_u32 s1, s7, s1
	v_add_u32_e32 v10, v10, v2
	v_lshlrev_b32_e32 v2, 3, v0
	v_mov_b32_e32 v3, 0
	v_lshl_add_u64 v[2:3], s[0:1], 0, v[2:3]
	s_and_b64 vcc, exec, s[16:17]
	s_waitcnt lgkmcnt(0)
	s_cbranch_vccz .LBB18_61
; %bb.60:
	s_barrier
	ds_read_b64 v[8:9], v13
	ds_read_b64 v[14:15], v6 offset:2048
	ds_read_b64 v[16:17], v7 offset:4096
	;; [unrolled: 1-line block ×3, first 2 shown]
	s_waitcnt lgkmcnt(3)
	global_store_dwordx2 v[2:3], v[8:9], off
	s_waitcnt lgkmcnt(2)
	global_store_dwordx2 v[2:3], v[14:15], off offset:2048
	v_add_co_u32_e32 v8, vcc, 0x1000, v2
	s_nop 1
	v_addc_co_u32_e32 v9, vcc, 0, v3, vcc
	s_waitcnt lgkmcnt(1)
	global_store_dwordx2 v[8:9], v[16:17], off
	s_mov_b64 s[0:1], -1
	s_cbranch_execz .LBB18_62
	s_branch .LBB18_67
.LBB18_61:
	s_mov_b64 s[0:1], 0
                                        ; implicit-def: $vgpr4_vgpr5
.LBB18_62:
	s_barrier
	s_waitcnt lgkmcnt(0)
	ds_read_b64 v[8:9], v6 offset:2048
	ds_read_b64 v[6:7], v7 offset:4096
	;; [unrolled: 1-line block ×3, first 2 shown]
	s_sub_i32 s2, s12, s14
	v_cmp_gt_u32_e32 vcc, s2, v0
	s_and_saveexec_b64 s[0:1], vcc
	s_cbranch_execnz .LBB18_76
; %bb.63:
	s_or_b64 exec, exec, s[0:1]
	v_cmp_gt_u32_e32 vcc, s2, v12
	s_and_saveexec_b64 s[0:1], vcc
	s_cbranch_execnz .LBB18_77
.LBB18_64:
	s_or_b64 exec, exec, s[0:1]
	v_cmp_gt_u32_e32 vcc, s2, v11
	s_and_saveexec_b64 s[0:1], vcc
	s_cbranch_execz .LBB18_66
.LBB18_65:
	s_waitcnt lgkmcnt(2)
	v_add_co_u32_e32 v8, vcc, 0x1000, v2
	s_nop 1
	v_addc_co_u32_e32 v9, vcc, 0, v3, vcc
	s_waitcnt lgkmcnt(1)
	global_store_dwordx2 v[8:9], v[6:7], off
.LBB18_66:
	s_or_b64 exec, exec, s[0:1]
	v_cmp_gt_u32_e64 s[0:1], s2, v1
.LBB18_67:
	s_and_saveexec_b64 s[2:3], s[0:1]
	s_cbranch_execz .LBB18_69
; %bb.68:
	v_add_co_u32_e32 v0, vcc, 0x1000, v2
	s_nop 1
	v_addc_co_u32_e32 v1, vcc, 0, v3, vcc
	s_waitcnt lgkmcnt(0)
	global_store_dwordx2 v[0:1], v[4:5], off offset:2048
.LBB18_69:
	s_endpgm
.LBB18_70:
	v_mov_b32_e32 v11, 0
	s_waitcnt vmcnt(2)
	v_subrev_u32_e32 v4, s15, v0
	v_mov_b32_e32 v5, v11
	v_lshl_add_u64 v[2:3], s[0:1], 0, v[10:11]
	v_lshl_add_u64 v[4:5], v[4:5], 3, s[4:5]
	v_cmp_gt_u32_e32 vcc, s15, v0
	s_nop 1
	v_cndmask_b32_e32 v3, v5, v3, vcc
	v_cndmask_b32_e32 v2, v4, v2, vcc
	global_load_dwordx2 v[2:3], v[2:3], off
	s_or_b64 exec, exec, s[2:3]
	v_cmp_gt_u32_e32 vcc, s13, v14
	s_and_saveexec_b64 s[2:3], vcc
	s_cbranch_execz .LBB18_6
.LBB18_71:
	v_mov_b32_e32 v15, 0
	s_waitcnt vmcnt(2)
	v_lshl_add_u64 v[4:5], v[14:15], 3, s[0:1]
	v_cmp_gt_u32_e32 vcc, s15, v14
	v_subrev_u32_e32 v14, s15, v14
	v_lshl_add_u64 v[14:15], v[14:15], 3, s[4:5]
	v_cndmask_b32_e32 v5, v15, v5, vcc
	v_cndmask_b32_e32 v4, v14, v4, vcc
	global_load_dwordx2 v[4:5], v[4:5], off
	s_or_b64 exec, exec, s[2:3]
	v_cmp_gt_u32_e32 vcc, s13, v12
	s_and_saveexec_b64 s[2:3], vcc
	s_cbranch_execnz .LBB18_7
	s_branch .LBB18_8
.LBB18_72:
	v_subrev_u32_e32 v16, s15, v0
	v_cmp_gt_u32_e32 vcc, s28, v16
                                        ; implicit-def: $vgpr14_vgpr15
	s_and_saveexec_b64 s[26:27], vcc
	s_xor_b64 s[26:27], exec, s[26:27]
; %bb.73:
	v_mov_b32_e32 v17, 0
	s_mov_b64 s[24:25], exec
	v_lshl_add_u64 v[14:15], s[22:23], 0, v[16:17]
; %bb.74:
	s_or_b64 exec, exec, s[26:27]
	s_and_b64 s[24:25], s[24:25], exec
	s_andn2_saveexec_b64 s[2:3], s[2:3]
	s_cbranch_execz .LBB18_26
.LBB18_75:
	s_or_b64 s[24:25], s[24:25], exec
	v_mov_b64_e32 v[14:15], v[12:13]
	s_or_b64 exec, exec, s[2:3]
	s_and_saveexec_b64 s[2:3], s[24:25]
	s_cbranch_execnz .LBB18_27
	s_branch .LBB18_28
.LBB18_76:
	ds_read_b64 v[14:15], v13
	s_waitcnt lgkmcnt(0)
	global_store_dwordx2 v[2:3], v[14:15], off
	s_or_b64 exec, exec, s[0:1]
	v_cmp_gt_u32_e32 vcc, s2, v12
	s_and_saveexec_b64 s[0:1], vcc
	s_cbranch_execz .LBB18_64
.LBB18_77:
	s_waitcnt lgkmcnt(2)
	global_store_dwordx2 v[2:3], v[8:9], off offset:2048
	s_or_b64 exec, exec, s[0:1]
	v_cmp_gt_u32_e32 vcc, s2, v11
	s_and_saveexec_b64 s[0:1], vcc
	s_cbranch_execnz .LBB18_65
	s_branch .LBB18_66
	.section	.rodata,"a",@progbits
	.p2align	6, 0x0
	.amdhsa_kernel _ZN7rocprim17ROCPRIM_304000_NS6detail35device_block_merge_mergepath_kernelINS1_37wrapped_merge_sort_block_merge_configINS0_14default_configElN2at4cuda3cub6detail10OpaqueTypeILi1EEEEEPlSC_PSA_SD_jNS1_19radix_merge_compareILb0ELb0ElNS0_19identity_decomposerEEEEEvT0_T1_T2_T3_T4_SL_jT5_PKSL_NS1_7vsmem_tE
		.amdhsa_group_segment_fixed_size 8448
		.amdhsa_private_segment_fixed_size 0
		.amdhsa_kernarg_size 320
		.amdhsa_user_sgpr_count 2
		.amdhsa_user_sgpr_dispatch_ptr 0
		.amdhsa_user_sgpr_queue_ptr 0
		.amdhsa_user_sgpr_kernarg_segment_ptr 1
		.amdhsa_user_sgpr_dispatch_id 0
		.amdhsa_user_sgpr_kernarg_preload_length 0
		.amdhsa_user_sgpr_kernarg_preload_offset 0
		.amdhsa_user_sgpr_private_segment_size 0
		.amdhsa_uses_dynamic_stack 0
		.amdhsa_enable_private_segment 0
		.amdhsa_system_sgpr_workgroup_id_x 1
		.amdhsa_system_sgpr_workgroup_id_y 1
		.amdhsa_system_sgpr_workgroup_id_z 1
		.amdhsa_system_sgpr_workgroup_info 0
		.amdhsa_system_vgpr_workitem_id 0
		.amdhsa_next_free_vgpr 27
		.amdhsa_next_free_sgpr 32
		.amdhsa_accum_offset 28
		.amdhsa_reserve_vcc 1
		.amdhsa_float_round_mode_32 0
		.amdhsa_float_round_mode_16_64 0
		.amdhsa_float_denorm_mode_32 3
		.amdhsa_float_denorm_mode_16_64 3
		.amdhsa_dx10_clamp 1
		.amdhsa_ieee_mode 1
		.amdhsa_fp16_overflow 0
		.amdhsa_tg_split 0
		.amdhsa_exception_fp_ieee_invalid_op 0
		.amdhsa_exception_fp_denorm_src 0
		.amdhsa_exception_fp_ieee_div_zero 0
		.amdhsa_exception_fp_ieee_overflow 0
		.amdhsa_exception_fp_ieee_underflow 0
		.amdhsa_exception_fp_ieee_inexact 0
		.amdhsa_exception_int_div_zero 0
	.end_amdhsa_kernel
	.section	.text._ZN7rocprim17ROCPRIM_304000_NS6detail35device_block_merge_mergepath_kernelINS1_37wrapped_merge_sort_block_merge_configINS0_14default_configElN2at4cuda3cub6detail10OpaqueTypeILi1EEEEEPlSC_PSA_SD_jNS1_19radix_merge_compareILb0ELb0ElNS0_19identity_decomposerEEEEEvT0_T1_T2_T3_T4_SL_jT5_PKSL_NS1_7vsmem_tE,"axG",@progbits,_ZN7rocprim17ROCPRIM_304000_NS6detail35device_block_merge_mergepath_kernelINS1_37wrapped_merge_sort_block_merge_configINS0_14default_configElN2at4cuda3cub6detail10OpaqueTypeILi1EEEEEPlSC_PSA_SD_jNS1_19radix_merge_compareILb0ELb0ElNS0_19identity_decomposerEEEEEvT0_T1_T2_T3_T4_SL_jT5_PKSL_NS1_7vsmem_tE,comdat
.Lfunc_end18:
	.size	_ZN7rocprim17ROCPRIM_304000_NS6detail35device_block_merge_mergepath_kernelINS1_37wrapped_merge_sort_block_merge_configINS0_14default_configElN2at4cuda3cub6detail10OpaqueTypeILi1EEEEEPlSC_PSA_SD_jNS1_19radix_merge_compareILb0ELb0ElNS0_19identity_decomposerEEEEEvT0_T1_T2_T3_T4_SL_jT5_PKSL_NS1_7vsmem_tE, .Lfunc_end18-_ZN7rocprim17ROCPRIM_304000_NS6detail35device_block_merge_mergepath_kernelINS1_37wrapped_merge_sort_block_merge_configINS0_14default_configElN2at4cuda3cub6detail10OpaqueTypeILi1EEEEEPlSC_PSA_SD_jNS1_19radix_merge_compareILb0ELb0ElNS0_19identity_decomposerEEEEEvT0_T1_T2_T3_T4_SL_jT5_PKSL_NS1_7vsmem_tE
                                        ; -- End function
	.section	.AMDGPU.csdata,"",@progbits
; Kernel info:
; codeLenInByte = 3100
; NumSgprs: 38
; NumVgprs: 27
; NumAgprs: 0
; TotalNumVgprs: 27
; ScratchSize: 0
; MemoryBound: 0
; FloatMode: 240
; IeeeMode: 1
; LDSByteSize: 8448 bytes/workgroup (compile time only)
; SGPRBlocks: 4
; VGPRBlocks: 3
; NumSGPRsForWavesPerEU: 38
; NumVGPRsForWavesPerEU: 27
; AccumOffset: 28
; Occupancy: 7
; WaveLimiterHint : 1
; COMPUTE_PGM_RSRC2:SCRATCH_EN: 0
; COMPUTE_PGM_RSRC2:USER_SGPR: 2
; COMPUTE_PGM_RSRC2:TRAP_HANDLER: 0
; COMPUTE_PGM_RSRC2:TGID_X_EN: 1
; COMPUTE_PGM_RSRC2:TGID_Y_EN: 1
; COMPUTE_PGM_RSRC2:TGID_Z_EN: 1
; COMPUTE_PGM_RSRC2:TIDIG_COMP_CNT: 0
; COMPUTE_PGM_RSRC3_GFX90A:ACCUM_OFFSET: 6
; COMPUTE_PGM_RSRC3_GFX90A:TG_SPLIT: 0
	.section	.text._ZN7rocprim17ROCPRIM_304000_NS6detail33device_block_merge_oddeven_kernelINS1_37wrapped_merge_sort_block_merge_configINS0_14default_configElN2at4cuda3cub6detail10OpaqueTypeILi1EEEEEPlSC_PSA_SD_jNS1_19radix_merge_compareILb0ELb0ElNS0_19identity_decomposerEEEEEvT0_T1_T2_T3_T4_SL_T5_,"axG",@progbits,_ZN7rocprim17ROCPRIM_304000_NS6detail33device_block_merge_oddeven_kernelINS1_37wrapped_merge_sort_block_merge_configINS0_14default_configElN2at4cuda3cub6detail10OpaqueTypeILi1EEEEEPlSC_PSA_SD_jNS1_19radix_merge_compareILb0ELb0ElNS0_19identity_decomposerEEEEEvT0_T1_T2_T3_T4_SL_T5_,comdat
	.protected	_ZN7rocprim17ROCPRIM_304000_NS6detail33device_block_merge_oddeven_kernelINS1_37wrapped_merge_sort_block_merge_configINS0_14default_configElN2at4cuda3cub6detail10OpaqueTypeILi1EEEEEPlSC_PSA_SD_jNS1_19radix_merge_compareILb0ELb0ElNS0_19identity_decomposerEEEEEvT0_T1_T2_T3_T4_SL_T5_ ; -- Begin function _ZN7rocprim17ROCPRIM_304000_NS6detail33device_block_merge_oddeven_kernelINS1_37wrapped_merge_sort_block_merge_configINS0_14default_configElN2at4cuda3cub6detail10OpaqueTypeILi1EEEEEPlSC_PSA_SD_jNS1_19radix_merge_compareILb0ELb0ElNS0_19identity_decomposerEEEEEvT0_T1_T2_T3_T4_SL_T5_
	.globl	_ZN7rocprim17ROCPRIM_304000_NS6detail33device_block_merge_oddeven_kernelINS1_37wrapped_merge_sort_block_merge_configINS0_14default_configElN2at4cuda3cub6detail10OpaqueTypeILi1EEEEEPlSC_PSA_SD_jNS1_19radix_merge_compareILb0ELb0ElNS0_19identity_decomposerEEEEEvT0_T1_T2_T3_T4_SL_T5_
	.p2align	8
	.type	_ZN7rocprim17ROCPRIM_304000_NS6detail33device_block_merge_oddeven_kernelINS1_37wrapped_merge_sort_block_merge_configINS0_14default_configElN2at4cuda3cub6detail10OpaqueTypeILi1EEEEEPlSC_PSA_SD_jNS1_19radix_merge_compareILb0ELb0ElNS0_19identity_decomposerEEEEEvT0_T1_T2_T3_T4_SL_T5_,@function
_ZN7rocprim17ROCPRIM_304000_NS6detail33device_block_merge_oddeven_kernelINS1_37wrapped_merge_sort_block_merge_configINS0_14default_configElN2at4cuda3cub6detail10OpaqueTypeILi1EEEEEPlSC_PSA_SD_jNS1_19radix_merge_compareILb0ELb0ElNS0_19identity_decomposerEEEEEvT0_T1_T2_T3_T4_SL_T5_: ; @_ZN7rocprim17ROCPRIM_304000_NS6detail33device_block_merge_oddeven_kernelINS1_37wrapped_merge_sort_block_merge_configINS0_14default_configElN2at4cuda3cub6detail10OpaqueTypeILi1EEEEEPlSC_PSA_SD_jNS1_19radix_merge_compareILb0ELb0ElNS0_19identity_decomposerEEEEEvT0_T1_T2_T3_T4_SL_T5_
; %bb.0:
	s_load_dwordx2 s[6:7], s[0:1], 0x20
	s_waitcnt lgkmcnt(0)
	s_lshr_b32 s3, s6, 8
	s_cmp_lg_u32 s2, s3
	s_cselect_b64 s[8:9], -1, 0
	s_cmp_eq_u32 s2, s3
	s_cselect_b64 s[16:17], -1, 0
	s_lshl_b32 s18, s2, 8
	s_sub_i32 s3, s6, s18
	v_cmp_gt_u32_e64 s[4:5], s3, v0
	s_or_b64 s[8:9], s[8:9], s[4:5]
	s_and_saveexec_b64 s[10:11], s[8:9]
	s_cbranch_execz .LBB19_26
; %bb.1:
	s_load_dwordx8 s[8:15], s[0:1], 0x0
	s_mov_b32 s19, 0
	s_lshl_b64 s[0:1], s[18:19], 3
	v_lshlrev_b32_e32 v1, 3, v0
	v_add_u32_e32 v4, s18, v0
	s_waitcnt lgkmcnt(0)
	s_add_u32 s0, s8, s0
	s_addc_u32 s1, s9, s1
	s_add_u32 s12, s12, s18
	s_addc_u32 s13, s13, 0
	global_load_ubyte v6, v0, s[12:13]
	global_load_dwordx2 v[2:3], v1, s[0:1]
	s_lshr_b32 s0, s7, 8
	s_sub_i32 s1, 0, s0
	s_and_b32 s1, s2, s1
	s_and_b32 s0, s1, s0
	s_lshl_b32 s21, s1, 8
	s_sub_i32 s12, 0, s7
	s_cmp_eq_u32 s0, 0
	s_cselect_b64 s[0:1], -1, 0
	s_and_b64 s[2:3], s[0:1], exec
	s_cselect_b32 s20, s7, s12
	s_add_i32 s20, s20, s21
	s_cmp_lt_u32 s20, s6
	s_cbranch_scc1 .LBB19_6
; %bb.2:
	s_and_b64 vcc, exec, s[16:17]
	s_cbranch_vccz .LBB19_7
; %bb.3:
	v_cmp_gt_u32_e32 vcc, s6, v4
	s_mov_b64 s[12:13], 0
	s_mov_b64 s[2:3], 0
                                        ; implicit-def: $vgpr0_vgpr1
	s_and_saveexec_b64 s[18:19], vcc
	s_cbranch_execz .LBB19_5
; %bb.4:
	v_mov_b32_e32 v5, 0
	s_mov_b64 s[2:3], exec
	v_lshl_add_u64 v[0:1], s[14:15], 0, v[4:5]
	v_lshl_add_u64 v[8:9], v[4:5], 3, s[10:11]
	s_waitcnt vmcnt(0)
	global_store_dwordx2 v[8:9], v[2:3], off
.LBB19_5:
	s_or_b64 exec, exec, s[18:19]
	s_and_b64 vcc, exec, s[12:13]
	s_cbranch_vccnz .LBB19_8
	s_branch .LBB19_9
.LBB19_6:
	s_mov_b64 s[2:3], 0
                                        ; implicit-def: $vgpr0_vgpr1
	s_cbranch_execnz .LBB19_10
	s_branch .LBB19_24
.LBB19_7:
	s_mov_b64 s[2:3], 0
                                        ; implicit-def: $vgpr0_vgpr1
	s_cbranch_execz .LBB19_9
.LBB19_8:
	v_mov_b32_e32 v5, 0
	v_lshl_add_u64 v[0:1], v[4:5], 3, s[10:11]
	s_waitcnt vmcnt(0)
	global_store_dwordx2 v[0:1], v[2:3], off
	v_lshl_add_u64 v[0:1], s[14:15], 0, v[4:5]
	s_or_b64 s[2:3], s[2:3], exec
.LBB19_9:
	s_branch .LBB19_24
.LBB19_10:
	s_min_u32 s12, s20, s6
	s_add_i32 s7, s12, s7
	s_min_u32 s13, s7, s6
	s_min_u32 s6, s21, s12
	s_add_i32 s21, s21, s12
	v_subrev_u32_e32 v0, s21, v4
	v_add_u32_e32 v4, s6, v0
	s_and_b64 vcc, exec, s[16:17]
	s_cbranch_vccz .LBB19_18
; %bb.11:
                                        ; implicit-def: $vgpr0_vgpr1
	s_and_saveexec_b64 s[6:7], s[4:5]
	s_cbranch_execz .LBB19_17
; %bb.12:
	s_cmp_ge_u32 s20, s13
	v_mov_b32_e32 v5, s12
	s_cbranch_scc1 .LBB19_16
; %bb.13:
	s_mov_b64 s[4:5], 0
	v_mov_b32_e32 v7, s13
	v_mov_b32_e32 v5, s12
	;; [unrolled: 1-line block ×3, first 2 shown]
.LBB19_14:                              ; =>This Inner Loop Header: Depth=1
	v_add_u32_e32 v0, v5, v7
	v_lshrrev_b32_e32 v0, 1, v0
	v_lshl_add_u64 v[8:9], v[0:1], 3, s[8:9]
	global_load_dwordx2 v[8:9], v[8:9], off
	v_add_u32_e32 v10, 1, v0
	s_waitcnt vmcnt(0)
	v_cmp_gt_i64_e32 vcc, v[2:3], v[8:9]
	s_nop 1
	v_cndmask_b32_e64 v11, 0, 1, vcc
	v_cmp_le_i64_e32 vcc, v[8:9], v[2:3]
	s_nop 1
	v_cndmask_b32_e64 v8, 0, 1, vcc
	v_cndmask_b32_e64 v8, v8, v11, s[0:1]
	v_and_b32_e32 v8, 1, v8
	v_cmp_eq_u32_e32 vcc, 1, v8
	s_nop 1
	v_cndmask_b32_e32 v7, v0, v7, vcc
	v_cndmask_b32_e32 v5, v5, v10, vcc
	v_cmp_ge_u32_e32 vcc, v5, v7
	s_or_b64 s[4:5], vcc, s[4:5]
	s_andn2_b64 exec, exec, s[4:5]
	s_cbranch_execnz .LBB19_14
; %bb.15:
	s_or_b64 exec, exec, s[4:5]
.LBB19_16:
	v_add_u32_e32 v0, v5, v4
	v_mov_b32_e32 v1, 0
	v_lshl_add_u64 v[8:9], v[0:1], 3, s[10:11]
	s_waitcnt vmcnt(0)
	global_store_dwordx2 v[8:9], v[2:3], off
	v_lshl_add_u64 v[0:1], s[14:15], 0, v[0:1]
	s_or_b64 s[2:3], s[2:3], exec
.LBB19_17:
	s_or_b64 exec, exec, s[6:7]
	s_branch .LBB19_24
.LBB19_18:
                                        ; implicit-def: $vgpr0_vgpr1
	s_cbranch_execz .LBB19_24
; %bb.19:
	s_cmp_ge_u32 s20, s13
	v_mov_b32_e32 v5, s12
	s_cbranch_scc1 .LBB19_23
; %bb.20:
	s_mov_b64 s[2:3], 0
	v_mov_b32_e32 v7, s13
	v_mov_b32_e32 v5, s12
	;; [unrolled: 1-line block ×3, first 2 shown]
.LBB19_21:                              ; =>This Inner Loop Header: Depth=1
	v_add_u32_e32 v0, v5, v7
	v_lshrrev_b32_e32 v0, 1, v0
	v_lshl_add_u64 v[8:9], v[0:1], 3, s[8:9]
	global_load_dwordx2 v[8:9], v[8:9], off
	v_add_u32_e32 v10, 1, v0
	s_waitcnt vmcnt(0)
	v_cmp_gt_i64_e32 vcc, v[2:3], v[8:9]
	s_nop 1
	v_cndmask_b32_e64 v11, 0, 1, vcc
	v_cmp_le_i64_e32 vcc, v[8:9], v[2:3]
	s_nop 1
	v_cndmask_b32_e64 v8, 0, 1, vcc
	v_cndmask_b32_e64 v8, v8, v11, s[0:1]
	v_and_b32_e32 v8, 1, v8
	v_cmp_eq_u32_e32 vcc, 1, v8
	s_nop 1
	v_cndmask_b32_e32 v7, v0, v7, vcc
	v_cndmask_b32_e32 v5, v5, v10, vcc
	v_cmp_ge_u32_e32 vcc, v5, v7
	s_or_b64 s[2:3], vcc, s[2:3]
	s_andn2_b64 exec, exec, s[2:3]
	s_cbranch_execnz .LBB19_21
; %bb.22:
	s_or_b64 exec, exec, s[2:3]
.LBB19_23:
	v_add_u32_e32 v0, v5, v4
	v_mov_b32_e32 v1, 0
	v_lshl_add_u64 v[4:5], v[0:1], 3, s[10:11]
	v_lshl_add_u64 v[0:1], s[14:15], 0, v[0:1]
	s_mov_b64 s[2:3], -1
	s_waitcnt vmcnt(0)
	global_store_dwordx2 v[4:5], v[2:3], off
.LBB19_24:
	s_and_b64 exec, exec, s[2:3]
	s_cbranch_execz .LBB19_26
; %bb.25:
	s_waitcnt vmcnt(1)
	global_store_byte v[0:1], v6, off
.LBB19_26:
	s_endpgm
	.section	.rodata,"a",@progbits
	.p2align	6, 0x0
	.amdhsa_kernel _ZN7rocprim17ROCPRIM_304000_NS6detail33device_block_merge_oddeven_kernelINS1_37wrapped_merge_sort_block_merge_configINS0_14default_configElN2at4cuda3cub6detail10OpaqueTypeILi1EEEEEPlSC_PSA_SD_jNS1_19radix_merge_compareILb0ELb0ElNS0_19identity_decomposerEEEEEvT0_T1_T2_T3_T4_SL_T5_
		.amdhsa_group_segment_fixed_size 0
		.amdhsa_private_segment_fixed_size 0
		.amdhsa_kernarg_size 44
		.amdhsa_user_sgpr_count 2
		.amdhsa_user_sgpr_dispatch_ptr 0
		.amdhsa_user_sgpr_queue_ptr 0
		.amdhsa_user_sgpr_kernarg_segment_ptr 1
		.amdhsa_user_sgpr_dispatch_id 0
		.amdhsa_user_sgpr_kernarg_preload_length 0
		.amdhsa_user_sgpr_kernarg_preload_offset 0
		.amdhsa_user_sgpr_private_segment_size 0
		.amdhsa_uses_dynamic_stack 0
		.amdhsa_enable_private_segment 0
		.amdhsa_system_sgpr_workgroup_id_x 1
		.amdhsa_system_sgpr_workgroup_id_y 0
		.amdhsa_system_sgpr_workgroup_id_z 0
		.amdhsa_system_sgpr_workgroup_info 0
		.amdhsa_system_vgpr_workitem_id 0
		.amdhsa_next_free_vgpr 12
		.amdhsa_next_free_sgpr 22
		.amdhsa_accum_offset 12
		.amdhsa_reserve_vcc 1
		.amdhsa_float_round_mode_32 0
		.amdhsa_float_round_mode_16_64 0
		.amdhsa_float_denorm_mode_32 3
		.amdhsa_float_denorm_mode_16_64 3
		.amdhsa_dx10_clamp 1
		.amdhsa_ieee_mode 1
		.amdhsa_fp16_overflow 0
		.amdhsa_tg_split 0
		.amdhsa_exception_fp_ieee_invalid_op 0
		.amdhsa_exception_fp_denorm_src 0
		.amdhsa_exception_fp_ieee_div_zero 0
		.amdhsa_exception_fp_ieee_overflow 0
		.amdhsa_exception_fp_ieee_underflow 0
		.amdhsa_exception_fp_ieee_inexact 0
		.amdhsa_exception_int_div_zero 0
	.end_amdhsa_kernel
	.section	.text._ZN7rocprim17ROCPRIM_304000_NS6detail33device_block_merge_oddeven_kernelINS1_37wrapped_merge_sort_block_merge_configINS0_14default_configElN2at4cuda3cub6detail10OpaqueTypeILi1EEEEEPlSC_PSA_SD_jNS1_19radix_merge_compareILb0ELb0ElNS0_19identity_decomposerEEEEEvT0_T1_T2_T3_T4_SL_T5_,"axG",@progbits,_ZN7rocprim17ROCPRIM_304000_NS6detail33device_block_merge_oddeven_kernelINS1_37wrapped_merge_sort_block_merge_configINS0_14default_configElN2at4cuda3cub6detail10OpaqueTypeILi1EEEEEPlSC_PSA_SD_jNS1_19radix_merge_compareILb0ELb0ElNS0_19identity_decomposerEEEEEvT0_T1_T2_T3_T4_SL_T5_,comdat
.Lfunc_end19:
	.size	_ZN7rocprim17ROCPRIM_304000_NS6detail33device_block_merge_oddeven_kernelINS1_37wrapped_merge_sort_block_merge_configINS0_14default_configElN2at4cuda3cub6detail10OpaqueTypeILi1EEEEEPlSC_PSA_SD_jNS1_19radix_merge_compareILb0ELb0ElNS0_19identity_decomposerEEEEEvT0_T1_T2_T3_T4_SL_T5_, .Lfunc_end19-_ZN7rocprim17ROCPRIM_304000_NS6detail33device_block_merge_oddeven_kernelINS1_37wrapped_merge_sort_block_merge_configINS0_14default_configElN2at4cuda3cub6detail10OpaqueTypeILi1EEEEEPlSC_PSA_SD_jNS1_19radix_merge_compareILb0ELb0ElNS0_19identity_decomposerEEEEEvT0_T1_T2_T3_T4_SL_T5_
                                        ; -- End function
	.section	.AMDGPU.csdata,"",@progbits
; Kernel info:
; codeLenInByte = 752
; NumSgprs: 28
; NumVgprs: 12
; NumAgprs: 0
; TotalNumVgprs: 12
; ScratchSize: 0
; MemoryBound: 0
; FloatMode: 240
; IeeeMode: 1
; LDSByteSize: 0 bytes/workgroup (compile time only)
; SGPRBlocks: 3
; VGPRBlocks: 1
; NumSGPRsForWavesPerEU: 28
; NumVGPRsForWavesPerEU: 12
; AccumOffset: 12
; Occupancy: 8
; WaveLimiterHint : 0
; COMPUTE_PGM_RSRC2:SCRATCH_EN: 0
; COMPUTE_PGM_RSRC2:USER_SGPR: 2
; COMPUTE_PGM_RSRC2:TRAP_HANDLER: 0
; COMPUTE_PGM_RSRC2:TGID_X_EN: 1
; COMPUTE_PGM_RSRC2:TGID_Y_EN: 0
; COMPUTE_PGM_RSRC2:TGID_Z_EN: 0
; COMPUTE_PGM_RSRC2:TIDIG_COMP_CNT: 0
; COMPUTE_PGM_RSRC3_GFX90A:ACCUM_OFFSET: 2
; COMPUTE_PGM_RSRC3_GFX90A:TG_SPLIT: 0
	.section	.text._ZN7rocprim17ROCPRIM_304000_NS6detail45device_block_merge_mergepath_partition_kernelINS1_37wrapped_merge_sort_block_merge_configINS0_14default_configElN2at4cuda3cub6detail10OpaqueTypeILi1EEEEEPljNS1_19radix_merge_compareILb0ELb1ElNS0_19identity_decomposerEEEEEvT0_T1_jPSH_T2_SH_,"axG",@progbits,_ZN7rocprim17ROCPRIM_304000_NS6detail45device_block_merge_mergepath_partition_kernelINS1_37wrapped_merge_sort_block_merge_configINS0_14default_configElN2at4cuda3cub6detail10OpaqueTypeILi1EEEEEPljNS1_19radix_merge_compareILb0ELb1ElNS0_19identity_decomposerEEEEEvT0_T1_jPSH_T2_SH_,comdat
	.protected	_ZN7rocprim17ROCPRIM_304000_NS6detail45device_block_merge_mergepath_partition_kernelINS1_37wrapped_merge_sort_block_merge_configINS0_14default_configElN2at4cuda3cub6detail10OpaqueTypeILi1EEEEEPljNS1_19radix_merge_compareILb0ELb1ElNS0_19identity_decomposerEEEEEvT0_T1_jPSH_T2_SH_ ; -- Begin function _ZN7rocprim17ROCPRIM_304000_NS6detail45device_block_merge_mergepath_partition_kernelINS1_37wrapped_merge_sort_block_merge_configINS0_14default_configElN2at4cuda3cub6detail10OpaqueTypeILi1EEEEEPljNS1_19radix_merge_compareILb0ELb1ElNS0_19identity_decomposerEEEEEvT0_T1_jPSH_T2_SH_
	.globl	_ZN7rocprim17ROCPRIM_304000_NS6detail45device_block_merge_mergepath_partition_kernelINS1_37wrapped_merge_sort_block_merge_configINS0_14default_configElN2at4cuda3cub6detail10OpaqueTypeILi1EEEEEPljNS1_19radix_merge_compareILb0ELb1ElNS0_19identity_decomposerEEEEEvT0_T1_jPSH_T2_SH_
	.p2align	8
	.type	_ZN7rocprim17ROCPRIM_304000_NS6detail45device_block_merge_mergepath_partition_kernelINS1_37wrapped_merge_sort_block_merge_configINS0_14default_configElN2at4cuda3cub6detail10OpaqueTypeILi1EEEEEPljNS1_19radix_merge_compareILb0ELb1ElNS0_19identity_decomposerEEEEEvT0_T1_jPSH_T2_SH_,@function
_ZN7rocprim17ROCPRIM_304000_NS6detail45device_block_merge_mergepath_partition_kernelINS1_37wrapped_merge_sort_block_merge_configINS0_14default_configElN2at4cuda3cub6detail10OpaqueTypeILi1EEEEEPljNS1_19radix_merge_compareILb0ELb1ElNS0_19identity_decomposerEEEEEvT0_T1_jPSH_T2_SH_: ; @_ZN7rocprim17ROCPRIM_304000_NS6detail45device_block_merge_mergepath_partition_kernelINS1_37wrapped_merge_sort_block_merge_configINS0_14default_configElN2at4cuda3cub6detail10OpaqueTypeILi1EEEEEPljNS1_19radix_merge_compareILb0ELb1ElNS0_19identity_decomposerEEEEEvT0_T1_jPSH_T2_SH_
; %bb.0:
	s_load_dwordx2 s[8:9], s[0:1], 0x8
	v_lshl_or_b32 v0, s2, 7, v0
	s_waitcnt lgkmcnt(0)
	v_cmp_gt_u32_e32 vcc, s9, v0
	s_and_saveexec_b64 s[2:3], vcc
	s_cbranch_execz .LBB20_6
; %bb.1:
	s_load_dword s2, s[0:1], 0x20
	s_load_dwordx4 s[4:7], s[0:1], 0x10
	s_waitcnt lgkmcnt(0)
	s_lshr_b32 s3, s2, 9
	s_and_b32 s3, s3, 0x7ffffe
	s_add_i32 s9, s3, -1
	s_sub_i32 s3, 0, s3
	v_and_b32_e32 v1, s3, v0
	v_lshlrev_b32_e32 v1, 10, v1
	v_min_u32_e32 v2, s8, v1
	v_add_u32_e32 v1, s2, v1
	v_min_u32_e32 v4, s8, v1
	v_add_u32_e32 v1, s2, v4
	v_and_b32_e32 v3, s9, v0
	v_min_u32_e32 v1, s8, v1
	v_sub_u32_e32 v5, v1, v2
	v_lshlrev_b32_e32 v3, 10, v3
	v_min_u32_e32 v10, v5, v3
	v_sub_u32_e32 v3, v4, v2
	v_sub_u32_e32 v1, v1, v4
	v_sub_u32_e64 v1, v10, v1 clamp
	v_min_u32_e32 v11, v10, v3
	v_cmp_lt_u32_e32 vcc, v1, v11
	s_and_saveexec_b64 s[2:3], vcc
	s_cbranch_execz .LBB20_5
; %bb.2:
	s_load_dwordx2 s[0:1], s[0:1], 0x0
	v_mov_b32_e32 v5, 0
	v_mov_b32_e32 v3, v5
	s_waitcnt lgkmcnt(0)
	v_lshl_add_u64 v[6:7], v[2:3], 3, s[0:1]
	v_lshl_add_u64 v[8:9], v[4:5], 3, s[0:1]
	s_mov_b64 s[0:1], 0
.LBB20_3:                               ; =>This Inner Loop Header: Depth=1
	v_add_u32_e32 v3, v11, v1
	v_lshrrev_b32_e32 v4, 1, v3
	v_mov_b32_e32 v13, v5
	v_xad_u32 v12, v4, -1, v10
	v_lshl_add_u64 v[14:15], v[4:5], 3, v[6:7]
	v_lshl_add_u64 v[12:13], v[12:13], 3, v[8:9]
	global_load_dwordx2 v[14:15], v[14:15], off
	v_add_u32_e32 v3, 1, v4
	global_load_dwordx2 v[12:13], v[12:13], off
	s_waitcnt vmcnt(1)
	v_and_b32_e32 v15, s7, v15
	v_and_b32_e32 v14, s6, v14
	s_waitcnt vmcnt(0)
	v_and_b32_e32 v13, s7, v13
	v_and_b32_e32 v12, s6, v12
	v_cmp_gt_i64_e32 vcc, v[14:15], v[12:13]
	s_nop 1
	v_cndmask_b32_e32 v11, v11, v4, vcc
	v_cndmask_b32_e32 v1, v3, v1, vcc
	v_cmp_ge_u32_e32 vcc, v1, v11
	s_or_b64 s[0:1], vcc, s[0:1]
	s_andn2_b64 exec, exec, s[0:1]
	s_cbranch_execnz .LBB20_3
; %bb.4:
	s_or_b64 exec, exec, s[0:1]
.LBB20_5:
	s_or_b64 exec, exec, s[2:3]
	v_mov_b32_e32 v4, s4
	v_mov_b32_e32 v5, s5
	v_add_u32_e32 v2, v1, v2
	v_mov_b32_e32 v1, 0
	v_lshl_add_u64 v[0:1], v[0:1], 2, v[4:5]
	global_store_dword v[0:1], v2, off
.LBB20_6:
	s_endpgm
	.section	.rodata,"a",@progbits
	.p2align	6, 0x0
	.amdhsa_kernel _ZN7rocprim17ROCPRIM_304000_NS6detail45device_block_merge_mergepath_partition_kernelINS1_37wrapped_merge_sort_block_merge_configINS0_14default_configElN2at4cuda3cub6detail10OpaqueTypeILi1EEEEEPljNS1_19radix_merge_compareILb0ELb1ElNS0_19identity_decomposerEEEEEvT0_T1_jPSH_T2_SH_
		.amdhsa_group_segment_fixed_size 0
		.amdhsa_private_segment_fixed_size 0
		.amdhsa_kernarg_size 36
		.amdhsa_user_sgpr_count 2
		.amdhsa_user_sgpr_dispatch_ptr 0
		.amdhsa_user_sgpr_queue_ptr 0
		.amdhsa_user_sgpr_kernarg_segment_ptr 1
		.amdhsa_user_sgpr_dispatch_id 0
		.amdhsa_user_sgpr_kernarg_preload_length 0
		.amdhsa_user_sgpr_kernarg_preload_offset 0
		.amdhsa_user_sgpr_private_segment_size 0
		.amdhsa_uses_dynamic_stack 0
		.amdhsa_enable_private_segment 0
		.amdhsa_system_sgpr_workgroup_id_x 1
		.amdhsa_system_sgpr_workgroup_id_y 0
		.amdhsa_system_sgpr_workgroup_id_z 0
		.amdhsa_system_sgpr_workgroup_info 0
		.amdhsa_system_vgpr_workitem_id 0
		.amdhsa_next_free_vgpr 16
		.amdhsa_next_free_sgpr 10
		.amdhsa_accum_offset 16
		.amdhsa_reserve_vcc 1
		.amdhsa_float_round_mode_32 0
		.amdhsa_float_round_mode_16_64 0
		.amdhsa_float_denorm_mode_32 3
		.amdhsa_float_denorm_mode_16_64 3
		.amdhsa_dx10_clamp 1
		.amdhsa_ieee_mode 1
		.amdhsa_fp16_overflow 0
		.amdhsa_tg_split 0
		.amdhsa_exception_fp_ieee_invalid_op 0
		.amdhsa_exception_fp_denorm_src 0
		.amdhsa_exception_fp_ieee_div_zero 0
		.amdhsa_exception_fp_ieee_overflow 0
		.amdhsa_exception_fp_ieee_underflow 0
		.amdhsa_exception_fp_ieee_inexact 0
		.amdhsa_exception_int_div_zero 0
	.end_amdhsa_kernel
	.section	.text._ZN7rocprim17ROCPRIM_304000_NS6detail45device_block_merge_mergepath_partition_kernelINS1_37wrapped_merge_sort_block_merge_configINS0_14default_configElN2at4cuda3cub6detail10OpaqueTypeILi1EEEEEPljNS1_19radix_merge_compareILb0ELb1ElNS0_19identity_decomposerEEEEEvT0_T1_jPSH_T2_SH_,"axG",@progbits,_ZN7rocprim17ROCPRIM_304000_NS6detail45device_block_merge_mergepath_partition_kernelINS1_37wrapped_merge_sort_block_merge_configINS0_14default_configElN2at4cuda3cub6detail10OpaqueTypeILi1EEEEEPljNS1_19radix_merge_compareILb0ELb1ElNS0_19identity_decomposerEEEEEvT0_T1_jPSH_T2_SH_,comdat
.Lfunc_end20:
	.size	_ZN7rocprim17ROCPRIM_304000_NS6detail45device_block_merge_mergepath_partition_kernelINS1_37wrapped_merge_sort_block_merge_configINS0_14default_configElN2at4cuda3cub6detail10OpaqueTypeILi1EEEEEPljNS1_19radix_merge_compareILb0ELb1ElNS0_19identity_decomposerEEEEEvT0_T1_jPSH_T2_SH_, .Lfunc_end20-_ZN7rocprim17ROCPRIM_304000_NS6detail45device_block_merge_mergepath_partition_kernelINS1_37wrapped_merge_sort_block_merge_configINS0_14default_configElN2at4cuda3cub6detail10OpaqueTypeILi1EEEEEPljNS1_19radix_merge_compareILb0ELb1ElNS0_19identity_decomposerEEEEEvT0_T1_jPSH_T2_SH_
                                        ; -- End function
	.section	.AMDGPU.csdata,"",@progbits
; Kernel info:
; codeLenInByte = 344
; NumSgprs: 16
; NumVgprs: 16
; NumAgprs: 0
; TotalNumVgprs: 16
; ScratchSize: 0
; MemoryBound: 0
; FloatMode: 240
; IeeeMode: 1
; LDSByteSize: 0 bytes/workgroup (compile time only)
; SGPRBlocks: 1
; VGPRBlocks: 1
; NumSGPRsForWavesPerEU: 16
; NumVGPRsForWavesPerEU: 16
; AccumOffset: 16
; Occupancy: 8
; WaveLimiterHint : 0
; COMPUTE_PGM_RSRC2:SCRATCH_EN: 0
; COMPUTE_PGM_RSRC2:USER_SGPR: 2
; COMPUTE_PGM_RSRC2:TRAP_HANDLER: 0
; COMPUTE_PGM_RSRC2:TGID_X_EN: 1
; COMPUTE_PGM_RSRC2:TGID_Y_EN: 0
; COMPUTE_PGM_RSRC2:TGID_Z_EN: 0
; COMPUTE_PGM_RSRC2:TIDIG_COMP_CNT: 0
; COMPUTE_PGM_RSRC3_GFX90A:ACCUM_OFFSET: 3
; COMPUTE_PGM_RSRC3_GFX90A:TG_SPLIT: 0
	.section	.text._ZN7rocprim17ROCPRIM_304000_NS6detail35device_block_merge_mergepath_kernelINS1_37wrapped_merge_sort_block_merge_configINS0_14default_configElN2at4cuda3cub6detail10OpaqueTypeILi1EEEEEPlSC_PSA_SD_jNS1_19radix_merge_compareILb0ELb1ElNS0_19identity_decomposerEEEEEvT0_T1_T2_T3_T4_SL_jT5_PKSL_NS1_7vsmem_tE,"axG",@progbits,_ZN7rocprim17ROCPRIM_304000_NS6detail35device_block_merge_mergepath_kernelINS1_37wrapped_merge_sort_block_merge_configINS0_14default_configElN2at4cuda3cub6detail10OpaqueTypeILi1EEEEEPlSC_PSA_SD_jNS1_19radix_merge_compareILb0ELb1ElNS0_19identity_decomposerEEEEEvT0_T1_T2_T3_T4_SL_jT5_PKSL_NS1_7vsmem_tE,comdat
	.protected	_ZN7rocprim17ROCPRIM_304000_NS6detail35device_block_merge_mergepath_kernelINS1_37wrapped_merge_sort_block_merge_configINS0_14default_configElN2at4cuda3cub6detail10OpaqueTypeILi1EEEEEPlSC_PSA_SD_jNS1_19radix_merge_compareILb0ELb1ElNS0_19identity_decomposerEEEEEvT0_T1_T2_T3_T4_SL_jT5_PKSL_NS1_7vsmem_tE ; -- Begin function _ZN7rocprim17ROCPRIM_304000_NS6detail35device_block_merge_mergepath_kernelINS1_37wrapped_merge_sort_block_merge_configINS0_14default_configElN2at4cuda3cub6detail10OpaqueTypeILi1EEEEEPlSC_PSA_SD_jNS1_19radix_merge_compareILb0ELb1ElNS0_19identity_decomposerEEEEEvT0_T1_T2_T3_T4_SL_jT5_PKSL_NS1_7vsmem_tE
	.globl	_ZN7rocprim17ROCPRIM_304000_NS6detail35device_block_merge_mergepath_kernelINS1_37wrapped_merge_sort_block_merge_configINS0_14default_configElN2at4cuda3cub6detail10OpaqueTypeILi1EEEEEPlSC_PSA_SD_jNS1_19radix_merge_compareILb0ELb1ElNS0_19identity_decomposerEEEEEvT0_T1_T2_T3_T4_SL_jT5_PKSL_NS1_7vsmem_tE
	.p2align	8
	.type	_ZN7rocprim17ROCPRIM_304000_NS6detail35device_block_merge_mergepath_kernelINS1_37wrapped_merge_sort_block_merge_configINS0_14default_configElN2at4cuda3cub6detail10OpaqueTypeILi1EEEEEPlSC_PSA_SD_jNS1_19radix_merge_compareILb0ELb1ElNS0_19identity_decomposerEEEEEvT0_T1_T2_T3_T4_SL_jT5_PKSL_NS1_7vsmem_tE,@function
_ZN7rocprim17ROCPRIM_304000_NS6detail35device_block_merge_mergepath_kernelINS1_37wrapped_merge_sort_block_merge_configINS0_14default_configElN2at4cuda3cub6detail10OpaqueTypeILi1EEEEEPlSC_PSA_SD_jNS1_19radix_merge_compareILb0ELb1ElNS0_19identity_decomposerEEEEEvT0_T1_T2_T3_T4_SL_jT5_PKSL_NS1_7vsmem_tE: ; @_ZN7rocprim17ROCPRIM_304000_NS6detail35device_block_merge_mergepath_kernelINS1_37wrapped_merge_sort_block_merge_configINS0_14default_configElN2at4cuda3cub6detail10OpaqueTypeILi1EEEEEPlSC_PSA_SD_jNS1_19radix_merge_compareILb0ELb1ElNS0_19identity_decomposerEEEEEvT0_T1_T2_T3_T4_SL_jT5_PKSL_NS1_7vsmem_tE
; %bb.0:
	s_load_dwordx2 s[28:29], s[0:1], 0x48
	s_load_dwordx4 s[12:15], s[0:1], 0x20
	s_add_u32 s26, s0, 0x48
	s_addc_u32 s27, s1, 0
	s_waitcnt lgkmcnt(0)
	s_mul_i32 s4, s29, s4
	s_add_i32 s3, s4, s3
	s_mul_i32 s3, s3, s28
	s_add_i32 s24, s3, s2
	s_cmp_ge_u32 s24, s14
	s_cbranch_scc1 .LBB21_69
; %bb.1:
	s_load_dwordx8 s[4:11], s[0:1], 0x0
	s_load_dwordx4 s[16:19], s[0:1], 0x30
	s_lshr_b32 s33, s12, 10
	s_cmp_lg_u32 s24, s33
	s_mov_b32 s25, 0
	s_cselect_b64 s[20:21], -1, 0
	s_lshl_b64 s[0:1], s[24:25], 2
	s_waitcnt lgkmcnt(0)
	s_add_u32 s0, s18, s0
	s_addc_u32 s1, s19, s1
	s_load_dwordx2 s[18:19], s[0:1], 0x0
	s_lshr_b32 s0, s13, 9
	s_and_b32 s0, s0, 0x7ffffe
	s_sub_i32 s0, 0, s0
	s_and_b32 s1, s24, s0
	s_lshl_b32 s3, s1, 10
	s_lshl_b32 s14, s24, 10
	;; [unrolled: 1-line block ×3, first 2 shown]
	s_sub_i32 s15, s14, s3
	s_add_i32 s1, s1, s13
	s_add_i32 s15, s1, s15
	s_waitcnt lgkmcnt(0)
	s_sub_i32 s22, s15, s18
	s_sub_i32 s15, s15, s19
	;; [unrolled: 1-line block ×3, first 2 shown]
	s_min_u32 s22, s12, s22
	s_addk_i32 s15, 0x400
	s_or_b32 s0, s24, s0
	s_min_u32 s3, s12, s1
	s_add_i32 s1, s1, s13
	s_cmp_eq_u32 s0, -1
	s_cselect_b32 s0, s1, s15
	s_cselect_b32 s1, s3, s19
	s_min_u32 s0, s0, s12
	s_mov_b32 s19, s25
	s_sub_i32 s15, s1, s18
	s_sub_i32 s29, s0, s22
	s_lshl_b64 s[0:1], s[18:19], 3
	s_add_u32 s0, s4, s0
	s_mov_b32 s23, s25
	s_addc_u32 s1, s5, s1
	s_lshl_b64 s[30:31], s[22:23], 3
	s_add_u32 s4, s4, s30
	s_addc_u32 s5, s5, s31
	s_cmp_lt_u32 s2, s28
	v_mov_b32_e32 v11, 0
	s_cselect_b32 s2, 12, 18
	global_load_dword v1, v11, s[26:27] offset:14
	s_add_u32 s2, s26, s2
	s_addc_u32 s3, s27, 0
	global_load_ushort v2, v11, s[2:3]
	v_cmp_gt_u32_e32 vcc, s15, v0
	s_cmp_eq_u32 s24, s33
	v_lshlrev_b32_e32 v10, 3, v0
	s_waitcnt vmcnt(1)
	v_lshrrev_b32_e32 v3, 16, v1
	v_and_b32_e32 v1, 0xffff, v1
	v_mul_lo_u32 v1, v1, v3
	s_waitcnt vmcnt(0)
	v_mul_lo_u32 v1, v1, v2
	v_add_u32_e32 v14, v1, v0
	v_add_u32_e32 v12, v14, v1
	s_cbranch_scc1 .LBB21_3
; %bb.2:
	v_subrev_u32_e32 v4, s15, v0
	v_mov_b32_e32 v5, v11
	v_lshl_add_u64 v[2:3], s[0:1], 0, v[10:11]
	v_lshl_add_u64 v[4:5], v[4:5], 3, s[4:5]
	v_mov_b32_e32 v15, v11
	v_subrev_u32_e32 v6, s15, v14
	v_mov_b32_e32 v7, v11
	v_cndmask_b32_e32 v3, v5, v3, vcc
	v_cndmask_b32_e32 v2, v4, v2, vcc
	v_lshl_add_u64 v[4:5], v[14:15], 3, s[0:1]
	v_lshl_add_u64 v[6:7], v[6:7], 3, s[4:5]
	v_cmp_gt_u32_e32 vcc, s15, v14
	v_mov_b32_e32 v13, v11
	v_subrev_u32_e32 v8, s15, v12
	v_mov_b32_e32 v9, v11
	v_cndmask_b32_e32 v5, v7, v5, vcc
	v_cndmask_b32_e32 v4, v6, v4, vcc
	v_lshl_add_u64 v[6:7], v[12:13], 3, s[0:1]
	v_lshl_add_u64 v[8:9], v[8:9], 3, s[4:5]
	v_cmp_gt_u32_e32 vcc, s15, v12
	v_mov_b32_e32 v19, v11
	global_load_dwordx2 v[2:3], v[2:3], off
	v_cndmask_b32_e32 v6, v8, v6, vcc
	v_add_u32_e32 v8, v12, v1
	v_cndmask_b32_e32 v7, v9, v7, vcc
	v_mov_b32_e32 v9, v11
	v_subrev_u32_e32 v18, s15, v8
	v_lshl_add_u64 v[16:17], v[8:9], 3, s[0:1]
	v_lshl_add_u64 v[18:19], v[18:19], 3, s[4:5]
	v_cmp_gt_u32_e32 vcc, s15, v8
	global_load_dwordx2 v[4:5], v[4:5], off
	s_add_i32 s13, s29, s15
	v_cndmask_b32_e32 v9, v19, v17, vcc
	v_cndmask_b32_e32 v8, v18, v16, vcc
	global_load_dwordx2 v[6:7], v[6:7], off
	s_nop 0
	global_load_dwordx2 v[8:9], v[8:9], off
	s_cbranch_execz .LBB21_4
	s_branch .LBB21_11
.LBB21_3:
                                        ; implicit-def: $vgpr2_vgpr3_vgpr4_vgpr5_vgpr6_vgpr7_vgpr8_vgpr9
                                        ; implicit-def: $sgpr13
.LBB21_4:
	s_add_i32 s13, s29, s15
	v_cmp_gt_u32_e32 vcc, s13, v0
                                        ; implicit-def: $vgpr2_vgpr3_vgpr4_vgpr5_vgpr6_vgpr7_vgpr8_vgpr9
	s_and_saveexec_b64 s[2:3], vcc
	s_cbranch_execnz .LBB21_70
; %bb.5:
	s_or_b64 exec, exec, s[2:3]
	v_cmp_gt_u32_e32 vcc, s13, v14
	s_and_saveexec_b64 s[2:3], vcc
	s_cbranch_execnz .LBB21_71
.LBB21_6:
	s_or_b64 exec, exec, s[2:3]
	v_cmp_gt_u32_e32 vcc, s13, v12
	s_and_saveexec_b64 s[2:3], vcc
	s_cbranch_execz .LBB21_8
.LBB21_7:
	v_mov_b32_e32 v13, 0
	v_subrev_u32_e32 v14, s15, v12
	v_mov_b32_e32 v15, v13
	s_waitcnt vmcnt(1)
	v_lshl_add_u64 v[6:7], v[12:13], 3, s[0:1]
	v_lshl_add_u64 v[14:15], v[14:15], 3, s[4:5]
	v_cmp_gt_u32_e32 vcc, s15, v12
	s_nop 1
	v_cndmask_b32_e32 v7, v15, v7, vcc
	v_cndmask_b32_e32 v6, v14, v6, vcc
	global_load_dwordx2 v[6:7], v[6:7], off
.LBB21_8:
	s_or_b64 exec, exec, s[2:3]
	v_add_u32_e32 v12, v12, v1
	v_cmp_gt_u32_e32 vcc, s13, v12
	s_and_saveexec_b64 s[2:3], vcc
	s_cbranch_execz .LBB21_10
; %bb.9:
	v_mov_b32_e32 v13, 0
	s_waitcnt vmcnt(0)
	v_lshl_add_u64 v[8:9], v[12:13], 3, s[0:1]
	v_cmp_gt_u32_e32 vcc, s15, v12
	v_subrev_u32_e32 v12, s15, v12
	v_lshl_add_u64 v[12:13], v[12:13], 3, s[4:5]
	v_cndmask_b32_e32 v9, v13, v9, vcc
	v_cndmask_b32_e32 v8, v12, v8, vcc
	global_load_dwordx2 v[8:9], v[8:9], off
.LBB21_10:
	s_or_b64 exec, exec, s[2:3]
.LBB21_11:
	v_lshlrev_b32_e32 v11, 2, v0
	v_min_u32_e32 v12, s13, v11
	v_sub_u32_e64 v1, v12, s29 clamp
	v_min_u32_e32 v13, s15, v12
	v_cmp_lt_u32_e32 vcc, v1, v13
	s_waitcnt vmcnt(0)
	ds_write2st64_b64 v10, v[2:3], v[4:5] offset1:4
	ds_write2st64_b64 v10, v[6:7], v[8:9] offset0:8 offset1:12
	s_waitcnt lgkmcnt(0)
	s_barrier
	s_and_saveexec_b64 s[0:1], vcc
	s_cbranch_execz .LBB21_15
; %bb.12:
	v_lshlrev_b32_e32 v14, 3, v12
	v_lshl_add_u32 v14, s15, 3, v14
	s_mov_b64 s[2:3], 0
.LBB21_13:                              ; =>This Inner Loop Header: Depth=1
	v_add_u32_e32 v15, v13, v1
	v_lshrrev_b32_e32 v15, 1, v15
	v_not_b32_e32 v18, v15
	v_lshlrev_b32_e32 v16, 3, v15
	v_lshl_add_u32 v18, v18, 3, v14
	ds_read_b64 v[16:17], v16
	ds_read_b64 v[18:19], v18
	v_add_u32_e32 v20, 1, v15
	s_waitcnt lgkmcnt(1)
	v_and_b32_e32 v17, s17, v17
	v_and_b32_e32 v16, s16, v16
	s_waitcnt lgkmcnt(0)
	v_and_b32_e32 v19, s17, v19
	v_and_b32_e32 v18, s16, v18
	v_cmp_gt_i64_e32 vcc, v[16:17], v[18:19]
	s_nop 1
	v_cndmask_b32_e32 v13, v13, v15, vcc
	v_cndmask_b32_e32 v1, v20, v1, vcc
	v_cmp_ge_u32_e32 vcc, v1, v13
	s_or_b64 s[2:3], vcc, s[2:3]
	s_andn2_b64 exec, exec, s[2:3]
	s_cbranch_execnz .LBB21_13
; %bb.14:
	s_or_b64 exec, exec, s[2:3]
.LBB21_15:
	s_or_b64 exec, exec, s[0:1]
	v_sub_u32_e32 v12, v12, v1
	v_add_u32_e32 v12, s15, v12
	v_cmp_ge_u32_e32 vcc, s15, v1
	v_cmp_ge_u32_e64 s[0:1], s13, v12
	s_or_b64 s[0:1], vcc, s[0:1]
                                        ; implicit-def: $vgpr20
                                        ; implicit-def: $vgpr21
                                        ; implicit-def: $vgpr19
                                        ; implicit-def: $vgpr18
	s_and_saveexec_b64 s[24:25], s[0:1]
	s_cbranch_execz .LBB21_21
; %bb.16:
	v_cmp_gt_u32_e32 vcc, s15, v1
                                        ; implicit-def: $vgpr2_vgpr3
	s_and_saveexec_b64 s[0:1], vcc
	s_cbranch_execz .LBB21_18
; %bb.17:
	v_lshlrev_b32_e32 v2, 3, v1
	ds_read_b64 v[2:3], v2
.LBB21_18:
	s_or_b64 exec, exec, s[0:1]
	v_cmp_le_u32_e64 s[0:1], s13, v12
	v_cmp_gt_u32_e64 s[2:3], s13, v12
                                        ; implicit-def: $vgpr4_vgpr5
	s_and_saveexec_b64 s[4:5], s[2:3]
	s_cbranch_execz .LBB21_20
; %bb.19:
	v_lshlrev_b32_e32 v4, 3, v12
	ds_read_b64 v[4:5], v4
.LBB21_20:
	s_or_b64 exec, exec, s[4:5]
	s_waitcnt lgkmcnt(0)
	v_and_b32_e32 v7, s17, v5
	v_and_b32_e32 v6, s16, v4
	;; [unrolled: 1-line block ×4, first 2 shown]
	v_cmp_le_i64_e64 s[2:3], v[8:9], v[6:7]
	s_and_b64 s[2:3], vcc, s[2:3]
	s_or_b64 vcc, s[0:1], s[2:3]
	v_mov_b32_e32 v13, s13
	v_mov_b32_e32 v14, s15
	v_cndmask_b32_e32 v18, v12, v1, vcc
	v_cndmask_b32_e32 v6, v13, v14, vcc
	v_add_u32_e32 v8, 1, v18
	v_add_u32_e32 v6, -1, v6
	v_min_u32_e32 v6, v8, v6
	v_lshlrev_b32_e32 v6, 3, v6
	ds_read_b64 v[6:7], v6
	v_cndmask_b32_e32 v12, v8, v12, vcc
	v_cndmask_b32_e32 v1, v1, v8, vcc
	v_cmp_gt_u32_e64 s[2:3], s15, v1
	v_cmp_le_u32_e64 s[0:1], s13, v12
	s_waitcnt lgkmcnt(0)
	v_cndmask_b32_e32 v15, v7, v5, vcc
	v_cndmask_b32_e32 v16, v6, v4, vcc
	;; [unrolled: 1-line block ×4, first 2 shown]
	v_and_b32_e32 v7, s17, v15
	v_and_b32_e32 v6, s16, v16
	;; [unrolled: 1-line block ×4, first 2 shown]
	v_cmp_le_i64_e64 s[4:5], v[8:9], v[6:7]
	s_and_b64 s[2:3], s[2:3], s[4:5]
	s_or_b64 s[0:1], s[0:1], s[2:3]
	v_cndmask_b32_e64 v19, v12, v1, s[0:1]
	v_cndmask_b32_e64 v6, v13, v14, s[0:1]
	v_add_u32_e32 v8, 1, v19
	v_add_u32_e32 v6, -1, v6
	v_min_u32_e32 v6, v8, v6
	v_lshlrev_b32_e32 v6, 3, v6
	ds_read_b64 v[6:7], v6
	v_cndmask_b32_e32 v3, v5, v3, vcc
	v_cndmask_b32_e32 v2, v4, v2, vcc
	v_cndmask_b32_e64 v1, v1, v8, s[0:1]
	v_cndmask_b32_e64 v12, v8, v12, s[0:1]
	s_waitcnt lgkmcnt(0)
	v_cndmask_b32_e64 v22, v7, v15, s[0:1]
	v_cndmask_b32_e64 v23, v6, v16, s[0:1]
	;; [unrolled: 1-line block ×4, first 2 shown]
	v_and_b32_e32 v5, s17, v22
	v_and_b32_e32 v4, s16, v23
	;; [unrolled: 1-line block ×4, first 2 shown]
	v_cmp_gt_u32_e64 s[2:3], s15, v1
	v_cmp_le_i64_e64 s[4:5], v[6:7], v[4:5]
	v_cmp_le_u32_e32 vcc, s13, v12
	s_and_b64 s[2:3], s[2:3], s[4:5]
	s_or_b64 vcc, vcc, s[2:3]
	v_cndmask_b32_e32 v21, v12, v1, vcc
	v_cndmask_b32_e32 v4, v13, v14, vcc
	v_add_u32_e32 v13, 1, v21
	v_add_u32_e32 v4, -1, v4
	v_min_u32_e32 v4, v13, v4
	v_lshlrev_b32_e32 v4, 3, v4
	ds_read_b64 v[8:9], v4
	v_cndmask_b32_e64 v5, v15, v17, s[0:1]
	v_cndmask_b32_e64 v4, v16, v20, s[0:1]
	v_cndmask_b32_e32 v20, v13, v12, vcc
	v_cndmask_b32_e32 v1, v1, v13, vcc
	s_waitcnt lgkmcnt(0)
	v_cndmask_b32_e32 v14, v9, v22, vcc
	v_cndmask_b32_e32 v15, v8, v23, vcc
	;; [unrolled: 1-line block ×4, first 2 shown]
	v_and_b32_e32 v9, s17, v14
	v_and_b32_e32 v8, s16, v15
	;; [unrolled: 1-line block ×4, first 2 shown]
	v_cmp_gt_u32_e64 s[0:1], s15, v1
	v_cmp_le_i64_e64 s[2:3], v[12:13], v[8:9]
	v_cndmask_b32_e32 v7, v22, v24, vcc
	v_cndmask_b32_e32 v6, v23, v25, vcc
	v_cmp_le_u32_e32 vcc, s13, v20
	s_and_b64 s[0:1], s[0:1], s[2:3]
	s_or_b64 vcc, vcc, s[0:1]
	v_cndmask_b32_e32 v20, v20, v1, vcc
	v_cndmask_b32_e32 v9, v14, v16, vcc
	;; [unrolled: 1-line block ×3, first 2 shown]
.LBB21_21:
	s_or_b64 exec, exec, s[24:25]
	s_add_u32 s24, s8, s18
	s_addc_u32 s25, s9, 0
	v_mov_b32_e32 v1, 0
	s_add_u32 s16, s8, s22
	v_cndmask_b32_e64 v12, 0, 1, s[20:21]
	s_addc_u32 s17, s9, 0
	v_cmp_gt_u32_e64 s[4:5], s15, v0
	v_cmp_le_u32_e64 s[2:3], s15, v0
	v_cmp_ne_u32_e64 s[0:1], 1, v12
	s_andn2_b64 vcc, exec, s[20:21]
	v_lshl_add_u64 v[12:13], s[24:25], 0, v[0:1]
	s_barrier
	s_cbranch_vccnz .LBB21_23
; %bb.22:
	v_subrev_u32_e32 v14, s15, v0
	v_mov_b32_e32 v15, v1
	v_lshl_add_u64 v[14:15], s[16:17], 0, v[14:15]
	v_lshl_add_u64 v[22:23], s[24:25], 0, v[0:1]
	v_or_b32_e32 v25, 0x100, v0
	v_cndmask_b32_e64 v15, v15, v23, s[4:5]
	v_cndmask_b32_e64 v14, v14, v22, s[4:5]
	s_mov_b64 s[4:5], 0x100
	v_subrev_u32_e32 v16, s15, v25
	v_mov_b32_e32 v17, v1
	global_load_ubyte v24, v[14:15], off
	v_lshl_add_u64 v[14:15], v[22:23], 0, s[4:5]
	v_lshl_add_u64 v[16:17], s[16:17], 0, v[16:17]
	v_cmp_gt_u32_e32 vcc, s15, v25
	v_or_b32_e32 v26, 0x200, v0
	s_mov_b64 s[4:5], 0x200
	v_cndmask_b32_e32 v15, v17, v15, vcc
	v_cndmask_b32_e32 v14, v16, v14, vcc
	v_subrev_u32_e32 v16, s15, v26
	v_mov_b32_e32 v17, v1
	global_load_ubyte v25, v[14:15], off
	v_lshl_add_u64 v[14:15], v[22:23], 0, s[4:5]
	v_lshl_add_u64 v[16:17], s[16:17], 0, v[16:17]
	v_cmp_gt_u32_e32 vcc, s15, v26
	s_mov_b64 s[4:5], 0x300
	v_lshl_add_u64 v[22:23], v[22:23], 0, s[4:5]
	v_cndmask_b32_e32 v15, v17, v15, vcc
	v_cndmask_b32_e32 v14, v16, v14, vcc
	global_load_ubyte v17, v[14:15], off
	v_or_b32_e32 v16, 0x300, v0
	v_mov_b32_e32 v15, v1
	v_subrev_u32_e32 v14, s15, v16
	v_lshl_add_u64 v[14:15], s[16:17], 0, v[14:15]
	v_cmp_gt_u32_e32 vcc, s15, v16
	s_mov_b64 s[4:5], -1
	s_nop 0
	v_cndmask_b32_e32 v15, v15, v23, vcc
	v_cndmask_b32_e32 v14, v14, v22, vcc
	s_waitcnt vmcnt(2)
	ds_write_b8 v0, v24
	s_waitcnt vmcnt(1)
	ds_write_b8 v0, v25 offset:256
	s_waitcnt vmcnt(0)
	ds_write_b8 v0, v17 offset:512
	s_cbranch_execz .LBB21_24
	s_branch .LBB21_43
.LBB21_23:
	s_mov_b64 s[4:5], 0
                                        ; implicit-def: $vgpr16
                                        ; implicit-def: $vgpr14_vgpr15
.LBB21_24:
	s_mov_b64 s[24:25], 0
                                        ; implicit-def: $vgpr14_vgpr15
	s_and_saveexec_b64 s[26:27], s[2:3]
	s_xor_b64 s[2:3], exec, s[26:27]
	s_cbranch_execnz .LBB21_72
; %bb.25:
	s_andn2_saveexec_b64 s[2:3], s[2:3]
	s_cbranch_execnz .LBB21_75
.LBB21_26:
	s_or_b64 exec, exec, s[2:3]
	s_and_saveexec_b64 s[2:3], s[24:25]
	s_cbranch_execz .LBB21_28
.LBB21_27:
	global_load_ubyte v1, v[14:15], off
	s_waitcnt vmcnt(0)
	ds_write_b8 v0, v1
.LBB21_28:
	s_or_b64 exec, exec, s[2:3]
	v_or_b32_e32 v14, 0x100, v0
	v_cmp_le_u32_e32 vcc, s15, v14
	s_mov_b64 s[2:3], -1
	v_mov_b64_e32 v[16:17], s[18:19]
	s_and_saveexec_b64 s[24:25], vcc
; %bb.29:
	v_subrev_u32_e32 v14, s15, v14
	v_cmp_gt_u32_e32 vcc, s29, v14
	v_mov_b64_e32 v[16:17], s[22:23]
	s_orn2_b64 s[2:3], vcc, exec
; %bb.30:
	s_or_b64 exec, exec, s[24:25]
	s_and_saveexec_b64 s[24:25], s[2:3]
	s_cbranch_execz .LBB21_32
; %bb.31:
	v_lshl_add_u64 v[16:17], s[8:9], 0, v[16:17]
	v_mov_b32_e32 v15, 0
	v_lshl_add_u64 v[14:15], v[16:17], 0, v[14:15]
	global_load_ubyte v1, v[14:15], off
	s_waitcnt vmcnt(0)
	ds_write_b8 v0, v1 offset:256
.LBB21_32:
	s_or_b64 exec, exec, s[24:25]
	v_or_b32_e32 v14, 0x200, v0
	v_cmp_le_u32_e32 vcc, s15, v14
	s_mov_b64 s[2:3], -1
	v_mov_b64_e32 v[16:17], s[18:19]
	s_and_saveexec_b64 s[18:19], vcc
; %bb.33:
	v_subrev_u32_e32 v14, s15, v14
	v_cmp_gt_u32_e32 vcc, s29, v14
	v_mov_b64_e32 v[16:17], s[22:23]
	s_orn2_b64 s[2:3], vcc, exec
; %bb.34:
	s_or_b64 exec, exec, s[18:19]
	s_and_saveexec_b64 s[18:19], s[2:3]
	s_cbranch_execz .LBB21_36
; %bb.35:
	v_lshl_add_u64 v[16:17], s[8:9], 0, v[16:17]
	v_mov_b32_e32 v15, 0
	v_lshl_add_u64 v[14:15], v[16:17], 0, v[14:15]
	global_load_ubyte v1, v[14:15], off
	s_waitcnt vmcnt(0)
	ds_write_b8 v0, v1 offset:512
.LBB21_36:
	s_or_b64 exec, exec, s[18:19]
	v_or_b32_e32 v1, 0x300, v0
	v_cmp_le_u32_e32 vcc, s15, v1
                                        ; implicit-def: $vgpr16
                                        ; implicit-def: $vgpr14_vgpr15
	s_and_saveexec_b64 s[2:3], vcc
	s_xor_b64 s[2:3], exec, s[2:3]
	s_cbranch_execz .LBB21_40
; %bb.37:
	v_subrev_u32_e32 v12, s15, v1
	v_cmp_gt_u32_e32 vcc, s29, v12
	s_mov_b64 s[8:9], s[4:5]
                                        ; implicit-def: $vgpr16
                                        ; implicit-def: $vgpr14_vgpr15
	s_and_saveexec_b64 s[18:19], vcc
; %bb.38:
	v_mov_b32_e32 v13, 0
	v_or_b32_e32 v16, 0x300, v0
	v_lshl_add_u64 v[14:15], s[16:17], 0, v[12:13]
	s_or_b64 s[8:9], s[4:5], exec
; %bb.39:
	s_or_b64 exec, exec, s[18:19]
	s_andn2_b64 s[4:5], s[4:5], exec
	s_and_b64 s[8:9], s[8:9], exec
	s_or_b64 s[4:5], s[4:5], s[8:9]
                                        ; implicit-def: $vgpr12_vgpr13
.LBB21_40:
	s_andn2_saveexec_b64 s[2:3], s[2:3]
; %bb.41:
	s_mov_b64 s[8:9], 0x300
	v_lshl_add_u64 v[14:15], v[12:13], 0, s[8:9]
	v_or_b32_e32 v16, 0x300, v0
	s_or_b64 s[4:5], s[4:5], exec
; %bb.42:
	s_or_b64 exec, exec, s[2:3]
.LBB21_43:
	s_and_saveexec_b64 s[2:3], s[4:5]
	s_cbranch_execz .LBB21_45
; %bb.44:
	global_load_ubyte v1, v[14:15], off
	s_waitcnt vmcnt(0)
	ds_write_b8 v16, v1
.LBB21_45:
	s_or_b64 exec, exec, s[2:3]
	s_and_b64 vcc, exec, s[0:1]
	v_add_u32_e32 v12, s14, v11
	s_waitcnt lgkmcnt(0)
	s_barrier
	s_cbranch_vccnz .LBB21_47
; %bb.46:
	ds_read_u8 v1, v19
	ds_read_u8 v14, v21
	ds_read_u8 v15, v18
	v_mov_b32_e32 v13, 0
	s_waitcnt lgkmcnt(2)
	v_lshlrev_b16_e32 v1, 8, v1
	s_mov_b64 s[0:1], -1
	s_waitcnt lgkmcnt(0)
	v_or_b32_e32 v1, v15, v1
	global_store_byte v12, v14, s[10:11] offset:2
	global_store_short v12, v1, s[10:11]
	s_cbranch_execz .LBB21_48
	s_branch .LBB21_57
.LBB21_47:
	s_mov_b64 s[0:1], 0
.LBB21_48:
	v_cmp_gt_u32_e32 vcc, s13, v11
	s_and_saveexec_b64 s[2:3], vcc
	s_cbranch_execz .LBB21_50
; %bb.49:
	ds_read_u8 v1, v18
	s_waitcnt lgkmcnt(0)
	global_store_byte v12, v1, s[10:11]
.LBB21_50:
	s_or_b64 exec, exec, s[2:3]
	v_or_b32_e32 v1, 1, v11
	v_cmp_gt_u32_e32 vcc, s13, v1
	s_and_saveexec_b64 s[2:3], vcc
	s_cbranch_execz .LBB21_52
; %bb.51:
	ds_read_u8 v1, v19
	s_waitcnt lgkmcnt(0)
	global_store_byte v12, v1, s[10:11] offset:1
.LBB21_52:
	s_or_b64 exec, exec, s[2:3]
	v_or_b32_e32 v1, 2, v11
	v_cmp_gt_u32_e32 vcc, s13, v1
	s_and_saveexec_b64 s[2:3], vcc
	s_cbranch_execz .LBB21_54
; %bb.53:
	ds_read_u8 v1, v21
	s_waitcnt lgkmcnt(0)
	global_store_byte v12, v1, s[10:11] offset:2
.LBB21_54:
	s_or_b64 exec, exec, s[2:3]
	v_or_b32_e32 v1, 3, v11
	v_cmp_gt_u32_e32 vcc, s13, v1
	s_and_saveexec_b64 s[2:3], vcc
; %bb.55:
	v_mov_b32_e32 v13, 0
	s_or_b64 s[0:1], s[0:1], exec
; %bb.56:
	s_or_b64 exec, exec, s[2:3]
.LBB21_57:
	s_and_saveexec_b64 s[2:3], s[0:1]
	s_cbranch_execz .LBB21_59
; %bb.58:
	ds_read_u8 v1, v20
	v_lshl_add_u64 v[12:13], s[10:11], 0, v[12:13]
	s_waitcnt lgkmcnt(0)
	global_store_byte v[12:13], v1, off offset:3
.LBB21_59:
	s_or_b64 exec, exec, s[2:3]
	v_and_b32_e32 v1, 0xf8, v0
	v_lshl_add_u32 v1, v11, 3, v1
	s_barrier
	s_barrier
	ds_write2_b64 v1, v[2:3], v[4:5] offset1:1
	ds_write2_b64 v1, v[6:7], v[8:9] offset0:2 offset1:3
	v_lshrrev_b32_e32 v1, 2, v0
	v_and_b32_e32 v1, 56, v1
	v_or_b32_e32 v12, 0x100, v0
	v_add_u32_e32 v13, v10, v1
	v_lshrrev_b32_e32 v1, 2, v12
	v_and_b32_e32 v1, 0x78, v1
	v_or_b32_e32 v11, 0x200, v0
	v_add_u32_e32 v6, v10, v1
	v_lshrrev_b32_e32 v1, 2, v11
	v_and_b32_e32 v1, 0xb8, v1
	s_mov_b32 s15, 0
	v_add_u32_e32 v7, v10, v1
	v_or_b32_e32 v1, 0x300, v0
	s_lshl_b64 s[0:1], s[14:15], 3
	v_lshrrev_b32_e32 v2, 2, v1
	s_add_u32 s0, s6, s0
	v_and_b32_e32 v2, 0xf8, v2
	s_addc_u32 s1, s7, s1
	v_add_u32_e32 v10, v10, v2
	v_lshlrev_b32_e32 v2, 3, v0
	v_mov_b32_e32 v3, 0
	v_lshl_add_u64 v[2:3], s[0:1], 0, v[2:3]
	s_and_b64 vcc, exec, s[20:21]
	s_waitcnt lgkmcnt(0)
	s_cbranch_vccz .LBB21_61
; %bb.60:
	s_barrier
	ds_read_b64 v[8:9], v13
	ds_read_b64 v[14:15], v6 offset:2048
	ds_read_b64 v[16:17], v7 offset:4096
	;; [unrolled: 1-line block ×3, first 2 shown]
	s_waitcnt lgkmcnt(3)
	global_store_dwordx2 v[2:3], v[8:9], off
	s_waitcnt lgkmcnt(2)
	global_store_dwordx2 v[2:3], v[14:15], off offset:2048
	v_add_co_u32_e32 v8, vcc, 0x1000, v2
	s_nop 1
	v_addc_co_u32_e32 v9, vcc, 0, v3, vcc
	s_waitcnt lgkmcnt(1)
	global_store_dwordx2 v[8:9], v[16:17], off
	s_mov_b64 s[0:1], -1
	s_cbranch_execz .LBB21_62
	s_branch .LBB21_67
.LBB21_61:
	s_mov_b64 s[0:1], 0
                                        ; implicit-def: $vgpr4_vgpr5
.LBB21_62:
	s_barrier
	s_waitcnt lgkmcnt(0)
	ds_read_b64 v[8:9], v6 offset:2048
	ds_read_b64 v[6:7], v7 offset:4096
	;; [unrolled: 1-line block ×3, first 2 shown]
	s_sub_i32 s2, s12, s14
	v_cmp_gt_u32_e32 vcc, s2, v0
	s_and_saveexec_b64 s[0:1], vcc
	s_cbranch_execnz .LBB21_76
; %bb.63:
	s_or_b64 exec, exec, s[0:1]
	v_cmp_gt_u32_e32 vcc, s2, v12
	s_and_saveexec_b64 s[0:1], vcc
	s_cbranch_execnz .LBB21_77
.LBB21_64:
	s_or_b64 exec, exec, s[0:1]
	v_cmp_gt_u32_e32 vcc, s2, v11
	s_and_saveexec_b64 s[0:1], vcc
	s_cbranch_execz .LBB21_66
.LBB21_65:
	s_waitcnt lgkmcnt(2)
	v_add_co_u32_e32 v8, vcc, 0x1000, v2
	s_nop 1
	v_addc_co_u32_e32 v9, vcc, 0, v3, vcc
	s_waitcnt lgkmcnt(1)
	global_store_dwordx2 v[8:9], v[6:7], off
.LBB21_66:
	s_or_b64 exec, exec, s[0:1]
	v_cmp_gt_u32_e64 s[0:1], s2, v1
.LBB21_67:
	s_and_saveexec_b64 s[2:3], s[0:1]
	s_cbranch_execz .LBB21_69
; %bb.68:
	v_add_co_u32_e32 v0, vcc, 0x1000, v2
	s_nop 1
	v_addc_co_u32_e32 v1, vcc, 0, v3, vcc
	s_waitcnt lgkmcnt(0)
	global_store_dwordx2 v[0:1], v[4:5], off offset:2048
.LBB21_69:
	s_endpgm
.LBB21_70:
	v_mov_b32_e32 v11, 0
	s_waitcnt vmcnt(2)
	v_subrev_u32_e32 v4, s15, v0
	v_mov_b32_e32 v5, v11
	v_lshl_add_u64 v[2:3], s[0:1], 0, v[10:11]
	v_lshl_add_u64 v[4:5], v[4:5], 3, s[4:5]
	v_cmp_gt_u32_e32 vcc, s15, v0
	s_nop 1
	v_cndmask_b32_e32 v3, v5, v3, vcc
	v_cndmask_b32_e32 v2, v4, v2, vcc
	global_load_dwordx2 v[2:3], v[2:3], off
	s_or_b64 exec, exec, s[2:3]
	v_cmp_gt_u32_e32 vcc, s13, v14
	s_and_saveexec_b64 s[2:3], vcc
	s_cbranch_execz .LBB21_6
.LBB21_71:
	v_mov_b32_e32 v15, 0
	s_waitcnt vmcnt(2)
	v_lshl_add_u64 v[4:5], v[14:15], 3, s[0:1]
	v_cmp_gt_u32_e32 vcc, s15, v14
	v_subrev_u32_e32 v14, s15, v14
	v_lshl_add_u64 v[14:15], v[14:15], 3, s[4:5]
	v_cndmask_b32_e32 v5, v15, v5, vcc
	v_cndmask_b32_e32 v4, v14, v4, vcc
	global_load_dwordx2 v[4:5], v[4:5], off
	s_or_b64 exec, exec, s[2:3]
	v_cmp_gt_u32_e32 vcc, s13, v12
	s_and_saveexec_b64 s[2:3], vcc
	s_cbranch_execnz .LBB21_7
	s_branch .LBB21_8
.LBB21_72:
	v_subrev_u32_e32 v16, s15, v0
	v_cmp_gt_u32_e32 vcc, s29, v16
                                        ; implicit-def: $vgpr14_vgpr15
	s_and_saveexec_b64 s[26:27], vcc
	s_xor_b64 s[26:27], exec, s[26:27]
; %bb.73:
	v_mov_b32_e32 v17, 0
	s_mov_b64 s[24:25], exec
	v_lshl_add_u64 v[14:15], s[16:17], 0, v[16:17]
; %bb.74:
	s_or_b64 exec, exec, s[26:27]
	s_and_b64 s[24:25], s[24:25], exec
	s_andn2_saveexec_b64 s[2:3], s[2:3]
	s_cbranch_execz .LBB21_26
.LBB21_75:
	s_or_b64 s[24:25], s[24:25], exec
	v_mov_b64_e32 v[14:15], v[12:13]
	s_or_b64 exec, exec, s[2:3]
	s_and_saveexec_b64 s[2:3], s[24:25]
	s_cbranch_execnz .LBB21_27
	s_branch .LBB21_28
.LBB21_76:
	ds_read_b64 v[14:15], v13
	s_waitcnt lgkmcnt(0)
	global_store_dwordx2 v[2:3], v[14:15], off
	s_or_b64 exec, exec, s[0:1]
	v_cmp_gt_u32_e32 vcc, s2, v12
	s_and_saveexec_b64 s[0:1], vcc
	s_cbranch_execz .LBB21_64
.LBB21_77:
	s_waitcnt lgkmcnt(2)
	global_store_dwordx2 v[2:3], v[8:9], off offset:2048
	s_or_b64 exec, exec, s[0:1]
	v_cmp_gt_u32_e32 vcc, s2, v11
	s_and_saveexec_b64 s[0:1], vcc
	s_cbranch_execnz .LBB21_65
	s_branch .LBB21_66
	.section	.rodata,"a",@progbits
	.p2align	6, 0x0
	.amdhsa_kernel _ZN7rocprim17ROCPRIM_304000_NS6detail35device_block_merge_mergepath_kernelINS1_37wrapped_merge_sort_block_merge_configINS0_14default_configElN2at4cuda3cub6detail10OpaqueTypeILi1EEEEEPlSC_PSA_SD_jNS1_19radix_merge_compareILb0ELb1ElNS0_19identity_decomposerEEEEEvT0_T1_T2_T3_T4_SL_jT5_PKSL_NS1_7vsmem_tE
		.amdhsa_group_segment_fixed_size 8448
		.amdhsa_private_segment_fixed_size 0
		.amdhsa_kernarg_size 328
		.amdhsa_user_sgpr_count 2
		.amdhsa_user_sgpr_dispatch_ptr 0
		.amdhsa_user_sgpr_queue_ptr 0
		.amdhsa_user_sgpr_kernarg_segment_ptr 1
		.amdhsa_user_sgpr_dispatch_id 0
		.amdhsa_user_sgpr_kernarg_preload_length 0
		.amdhsa_user_sgpr_kernarg_preload_offset 0
		.amdhsa_user_sgpr_private_segment_size 0
		.amdhsa_uses_dynamic_stack 0
		.amdhsa_enable_private_segment 0
		.amdhsa_system_sgpr_workgroup_id_x 1
		.amdhsa_system_sgpr_workgroup_id_y 1
		.amdhsa_system_sgpr_workgroup_id_z 1
		.amdhsa_system_sgpr_workgroup_info 0
		.amdhsa_system_vgpr_workitem_id 0
		.amdhsa_next_free_vgpr 27
		.amdhsa_next_free_sgpr 34
		.amdhsa_accum_offset 28
		.amdhsa_reserve_vcc 1
		.amdhsa_float_round_mode_32 0
		.amdhsa_float_round_mode_16_64 0
		.amdhsa_float_denorm_mode_32 3
		.amdhsa_float_denorm_mode_16_64 3
		.amdhsa_dx10_clamp 1
		.amdhsa_ieee_mode 1
		.amdhsa_fp16_overflow 0
		.amdhsa_tg_split 0
		.amdhsa_exception_fp_ieee_invalid_op 0
		.amdhsa_exception_fp_denorm_src 0
		.amdhsa_exception_fp_ieee_div_zero 0
		.amdhsa_exception_fp_ieee_overflow 0
		.amdhsa_exception_fp_ieee_underflow 0
		.amdhsa_exception_fp_ieee_inexact 0
		.amdhsa_exception_int_div_zero 0
	.end_amdhsa_kernel
	.section	.text._ZN7rocprim17ROCPRIM_304000_NS6detail35device_block_merge_mergepath_kernelINS1_37wrapped_merge_sort_block_merge_configINS0_14default_configElN2at4cuda3cub6detail10OpaqueTypeILi1EEEEEPlSC_PSA_SD_jNS1_19radix_merge_compareILb0ELb1ElNS0_19identity_decomposerEEEEEvT0_T1_T2_T3_T4_SL_jT5_PKSL_NS1_7vsmem_tE,"axG",@progbits,_ZN7rocprim17ROCPRIM_304000_NS6detail35device_block_merge_mergepath_kernelINS1_37wrapped_merge_sort_block_merge_configINS0_14default_configElN2at4cuda3cub6detail10OpaqueTypeILi1EEEEEPlSC_PSA_SD_jNS1_19radix_merge_compareILb0ELb1ElNS0_19identity_decomposerEEEEEvT0_T1_T2_T3_T4_SL_jT5_PKSL_NS1_7vsmem_tE,comdat
.Lfunc_end21:
	.size	_ZN7rocprim17ROCPRIM_304000_NS6detail35device_block_merge_mergepath_kernelINS1_37wrapped_merge_sort_block_merge_configINS0_14default_configElN2at4cuda3cub6detail10OpaqueTypeILi1EEEEEPlSC_PSA_SD_jNS1_19radix_merge_compareILb0ELb1ElNS0_19identity_decomposerEEEEEvT0_T1_T2_T3_T4_SL_jT5_PKSL_NS1_7vsmem_tE, .Lfunc_end21-_ZN7rocprim17ROCPRIM_304000_NS6detail35device_block_merge_mergepath_kernelINS1_37wrapped_merge_sort_block_merge_configINS0_14default_configElN2at4cuda3cub6detail10OpaqueTypeILi1EEEEEPlSC_PSA_SD_jNS1_19radix_merge_compareILb0ELb1ElNS0_19identity_decomposerEEEEEvT0_T1_T2_T3_T4_SL_jT5_PKSL_NS1_7vsmem_tE
                                        ; -- End function
	.section	.AMDGPU.csdata,"",@progbits
; Kernel info:
; codeLenInByte = 3188
; NumSgprs: 40
; NumVgprs: 27
; NumAgprs: 0
; TotalNumVgprs: 27
; ScratchSize: 0
; MemoryBound: 0
; FloatMode: 240
; IeeeMode: 1
; LDSByteSize: 8448 bytes/workgroup (compile time only)
; SGPRBlocks: 4
; VGPRBlocks: 3
; NumSGPRsForWavesPerEU: 40
; NumVGPRsForWavesPerEU: 27
; AccumOffset: 28
; Occupancy: 7
; WaveLimiterHint : 1
; COMPUTE_PGM_RSRC2:SCRATCH_EN: 0
; COMPUTE_PGM_RSRC2:USER_SGPR: 2
; COMPUTE_PGM_RSRC2:TRAP_HANDLER: 0
; COMPUTE_PGM_RSRC2:TGID_X_EN: 1
; COMPUTE_PGM_RSRC2:TGID_Y_EN: 1
; COMPUTE_PGM_RSRC2:TGID_Z_EN: 1
; COMPUTE_PGM_RSRC2:TIDIG_COMP_CNT: 0
; COMPUTE_PGM_RSRC3_GFX90A:ACCUM_OFFSET: 6
; COMPUTE_PGM_RSRC3_GFX90A:TG_SPLIT: 0
	.section	.text._ZN7rocprim17ROCPRIM_304000_NS6detail33device_block_merge_oddeven_kernelINS1_37wrapped_merge_sort_block_merge_configINS0_14default_configElN2at4cuda3cub6detail10OpaqueTypeILi1EEEEEPlSC_PSA_SD_jNS1_19radix_merge_compareILb0ELb1ElNS0_19identity_decomposerEEEEEvT0_T1_T2_T3_T4_SL_T5_,"axG",@progbits,_ZN7rocprim17ROCPRIM_304000_NS6detail33device_block_merge_oddeven_kernelINS1_37wrapped_merge_sort_block_merge_configINS0_14default_configElN2at4cuda3cub6detail10OpaqueTypeILi1EEEEEPlSC_PSA_SD_jNS1_19radix_merge_compareILb0ELb1ElNS0_19identity_decomposerEEEEEvT0_T1_T2_T3_T4_SL_T5_,comdat
	.protected	_ZN7rocprim17ROCPRIM_304000_NS6detail33device_block_merge_oddeven_kernelINS1_37wrapped_merge_sort_block_merge_configINS0_14default_configElN2at4cuda3cub6detail10OpaqueTypeILi1EEEEEPlSC_PSA_SD_jNS1_19radix_merge_compareILb0ELb1ElNS0_19identity_decomposerEEEEEvT0_T1_T2_T3_T4_SL_T5_ ; -- Begin function _ZN7rocprim17ROCPRIM_304000_NS6detail33device_block_merge_oddeven_kernelINS1_37wrapped_merge_sort_block_merge_configINS0_14default_configElN2at4cuda3cub6detail10OpaqueTypeILi1EEEEEPlSC_PSA_SD_jNS1_19radix_merge_compareILb0ELb1ElNS0_19identity_decomposerEEEEEvT0_T1_T2_T3_T4_SL_T5_
	.globl	_ZN7rocprim17ROCPRIM_304000_NS6detail33device_block_merge_oddeven_kernelINS1_37wrapped_merge_sort_block_merge_configINS0_14default_configElN2at4cuda3cub6detail10OpaqueTypeILi1EEEEEPlSC_PSA_SD_jNS1_19radix_merge_compareILb0ELb1ElNS0_19identity_decomposerEEEEEvT0_T1_T2_T3_T4_SL_T5_
	.p2align	8
	.type	_ZN7rocprim17ROCPRIM_304000_NS6detail33device_block_merge_oddeven_kernelINS1_37wrapped_merge_sort_block_merge_configINS0_14default_configElN2at4cuda3cub6detail10OpaqueTypeILi1EEEEEPlSC_PSA_SD_jNS1_19radix_merge_compareILb0ELb1ElNS0_19identity_decomposerEEEEEvT0_T1_T2_T3_T4_SL_T5_,@function
_ZN7rocprim17ROCPRIM_304000_NS6detail33device_block_merge_oddeven_kernelINS1_37wrapped_merge_sort_block_merge_configINS0_14default_configElN2at4cuda3cub6detail10OpaqueTypeILi1EEEEEPlSC_PSA_SD_jNS1_19radix_merge_compareILb0ELb1ElNS0_19identity_decomposerEEEEEvT0_T1_T2_T3_T4_SL_T5_: ; @_ZN7rocprim17ROCPRIM_304000_NS6detail33device_block_merge_oddeven_kernelINS1_37wrapped_merge_sort_block_merge_configINS0_14default_configElN2at4cuda3cub6detail10OpaqueTypeILi1EEEEEPlSC_PSA_SD_jNS1_19radix_merge_compareILb0ELb1ElNS0_19identity_decomposerEEEEEvT0_T1_T2_T3_T4_SL_T5_
; %bb.0:
	s_load_dwordx2 s[18:19], s[0:1], 0x20
	s_waitcnt lgkmcnt(0)
	s_lshr_b32 s3, s18, 8
	s_cmp_lg_u32 s2, s3
	s_cselect_b64 s[4:5], -1, 0
	s_cmp_eq_u32 s2, s3
	s_cselect_b64 s[16:17], -1, 0
	s_lshl_b32 s20, s2, 8
	s_sub_i32 s3, s18, s20
	v_cmp_gt_u32_e64 s[6:7], s3, v0
	s_or_b64 s[4:5], s[4:5], s[6:7]
	s_and_saveexec_b64 s[8:9], s[4:5]
	s_cbranch_execz .LBB22_26
; %bb.1:
	s_load_dwordx8 s[8:15], s[0:1], 0x0
	s_mov_b32 s21, 0
	s_lshl_b64 s[4:5], s[20:21], 3
	v_lshlrev_b32_e32 v1, 3, v0
	v_add_u32_e32 v4, s20, v0
	s_waitcnt lgkmcnt(0)
	s_add_u32 s4, s8, s4
	s_addc_u32 s5, s9, s5
	s_add_u32 s12, s12, s20
	s_addc_u32 s13, s13, 0
	global_load_ubyte v6, v0, s[12:13]
	global_load_dwordx2 v[2:3], v1, s[4:5]
	s_lshr_b32 s3, s19, 8
	s_sub_i32 s4, 0, s3
	s_and_b32 s2, s2, s4
	s_and_b32 s3, s2, s3
	s_lshl_b32 s23, s2, 8
	s_sub_i32 s12, 0, s19
	s_cmp_eq_u32 s3, 0
	s_cselect_b64 s[4:5], -1, 0
	s_and_b64 s[2:3], s[4:5], exec
	s_cselect_b32 s22, s19, s12
	s_add_i32 s22, s22, s23
	s_cmp_lt_u32 s22, s18
	s_cbranch_scc1 .LBB22_6
; %bb.2:
	s_and_b64 vcc, exec, s[16:17]
	s_cbranch_vccz .LBB22_7
; %bb.3:
	v_cmp_gt_u32_e32 vcc, s18, v4
	s_mov_b64 s[12:13], 0
	s_mov_b64 s[2:3], 0
                                        ; implicit-def: $vgpr0_vgpr1
	s_and_saveexec_b64 s[20:21], vcc
	s_cbranch_execz .LBB22_5
; %bb.4:
	v_mov_b32_e32 v5, 0
	s_mov_b64 s[2:3], exec
	v_lshl_add_u64 v[0:1], s[14:15], 0, v[4:5]
	v_lshl_add_u64 v[8:9], v[4:5], 3, s[10:11]
	s_waitcnt vmcnt(0)
	global_store_dwordx2 v[8:9], v[2:3], off
.LBB22_5:
	s_or_b64 exec, exec, s[20:21]
	s_and_b64 vcc, exec, s[12:13]
	s_cbranch_vccnz .LBB22_8
	s_branch .LBB22_9
.LBB22_6:
	s_mov_b64 s[2:3], 0
                                        ; implicit-def: $vgpr0_vgpr1
	s_cbranch_execnz .LBB22_10
	s_branch .LBB22_24
.LBB22_7:
	s_mov_b64 s[2:3], 0
                                        ; implicit-def: $vgpr0_vgpr1
	s_cbranch_execz .LBB22_9
.LBB22_8:
	v_mov_b32_e32 v5, 0
	v_lshl_add_u64 v[0:1], v[4:5], 3, s[10:11]
	s_waitcnt vmcnt(0)
	global_store_dwordx2 v[0:1], v[2:3], off
	v_lshl_add_u64 v[0:1], s[14:15], 0, v[4:5]
	s_or_b64 s[2:3], s[2:3], exec
.LBB22_9:
	s_branch .LBB22_24
.LBB22_10:
	s_min_u32 s20, s22, s18
	s_load_dwordx2 s[0:1], s[0:1], 0x28
	s_add_i32 s12, s20, s19
	s_min_u32 s18, s12, s18
	s_min_u32 s12, s23, s20
	s_add_i32 s23, s23, s20
	v_subrev_u32_e32 v0, s23, v4
	v_add_u32_e32 v7, s12, v0
	s_and_b64 vcc, exec, s[16:17]
	s_cbranch_vccz .LBB22_18
; %bb.11:
                                        ; implicit-def: $vgpr0_vgpr1
	s_and_saveexec_b64 s[12:13], s[6:7]
	s_cbranch_execz .LBB22_17
; %bb.12:
	s_cmp_ge_u32 s22, s18
	v_mov_b32_e32 v8, s20
	s_cbranch_scc1 .LBB22_16
; %bb.13:
	s_waitcnt vmcnt(0) lgkmcnt(0)
	v_and_b32_e32 v1, s1, v3
	v_and_b32_e32 v0, s0, v2
	s_mov_b64 s[6:7], 0
	v_mov_b32_e32 v9, s18
	v_mov_b32_e32 v8, s20
	;; [unrolled: 1-line block ×3, first 2 shown]
.LBB22_14:                              ; =>This Inner Loop Header: Depth=1
	v_add_u32_e32 v4, v8, v9
	v_lshrrev_b32_e32 v4, 1, v4
	v_lshl_add_u64 v[10:11], v[4:5], 3, s[8:9]
	global_load_dwordx2 v[10:11], v[10:11], off
	v_add_u32_e32 v12, 1, v4
	s_waitcnt vmcnt(0)
	v_and_b32_e32 v11, s1, v11
	v_and_b32_e32 v10, s0, v10
	v_cmp_gt_i64_e32 vcc, v[0:1], v[10:11]
	s_nop 1
	v_cndmask_b32_e64 v13, 0, 1, vcc
	v_cmp_le_i64_e32 vcc, v[10:11], v[0:1]
	s_nop 1
	v_cndmask_b32_e64 v10, 0, 1, vcc
	v_cndmask_b32_e64 v10, v10, v13, s[4:5]
	v_and_b32_e32 v10, 1, v10
	v_cmp_eq_u32_e32 vcc, 1, v10
	s_nop 1
	v_cndmask_b32_e32 v9, v4, v9, vcc
	v_cndmask_b32_e32 v8, v8, v12, vcc
	v_cmp_ge_u32_e32 vcc, v8, v9
	s_or_b64 s[6:7], vcc, s[6:7]
	s_andn2_b64 exec, exec, s[6:7]
	s_cbranch_execnz .LBB22_14
; %bb.15:
	s_or_b64 exec, exec, s[6:7]
.LBB22_16:
	v_add_u32_e32 v0, v8, v7
	v_mov_b32_e32 v1, 0
	v_lshl_add_u64 v[4:5], v[0:1], 3, s[10:11]
	s_waitcnt vmcnt(0)
	global_store_dwordx2 v[4:5], v[2:3], off
	v_lshl_add_u64 v[0:1], s[14:15], 0, v[0:1]
	s_or_b64 s[2:3], s[2:3], exec
.LBB22_17:
	s_or_b64 exec, exec, s[12:13]
	s_branch .LBB22_24
.LBB22_18:
                                        ; implicit-def: $vgpr0_vgpr1
	s_cbranch_execz .LBB22_24
; %bb.19:
	s_cmp_ge_u32 s22, s18
	v_mov_b32_e32 v8, s20
	s_cbranch_scc1 .LBB22_23
; %bb.20:
	s_waitcnt vmcnt(0) lgkmcnt(0)
	v_and_b32_e32 v1, s1, v3
	v_and_b32_e32 v0, s0, v2
	s_mov_b64 s[2:3], 0
	v_mov_b32_e32 v9, s18
	v_mov_b32_e32 v8, s20
	v_mov_b32_e32 v5, 0
.LBB22_21:                              ; =>This Inner Loop Header: Depth=1
	v_add_u32_e32 v4, v8, v9
	v_lshrrev_b32_e32 v4, 1, v4
	v_lshl_add_u64 v[10:11], v[4:5], 3, s[8:9]
	global_load_dwordx2 v[10:11], v[10:11], off
	v_add_u32_e32 v12, 1, v4
	s_waitcnt vmcnt(0)
	v_and_b32_e32 v11, s1, v11
	v_and_b32_e32 v10, s0, v10
	v_cmp_gt_i64_e32 vcc, v[0:1], v[10:11]
	s_nop 1
	v_cndmask_b32_e64 v13, 0, 1, vcc
	v_cmp_le_i64_e32 vcc, v[10:11], v[0:1]
	s_nop 1
	v_cndmask_b32_e64 v10, 0, 1, vcc
	v_cndmask_b32_e64 v10, v10, v13, s[4:5]
	v_and_b32_e32 v10, 1, v10
	v_cmp_eq_u32_e32 vcc, 1, v10
	s_nop 1
	v_cndmask_b32_e32 v9, v4, v9, vcc
	v_cndmask_b32_e32 v8, v8, v12, vcc
	v_cmp_ge_u32_e32 vcc, v8, v9
	s_or_b64 s[2:3], vcc, s[2:3]
	s_andn2_b64 exec, exec, s[2:3]
	s_cbranch_execnz .LBB22_21
; %bb.22:
	s_or_b64 exec, exec, s[2:3]
.LBB22_23:
	v_add_u32_e32 v0, v8, v7
	v_mov_b32_e32 v1, 0
	v_lshl_add_u64 v[4:5], v[0:1], 3, s[10:11]
	v_lshl_add_u64 v[0:1], s[14:15], 0, v[0:1]
	s_mov_b64 s[2:3], -1
	s_waitcnt vmcnt(0)
	global_store_dwordx2 v[4:5], v[2:3], off
.LBB22_24:
	s_and_b64 exec, exec, s[2:3]
	s_cbranch_execz .LBB22_26
; %bb.25:
	s_waitcnt vmcnt(1)
	global_store_byte v[0:1], v6, off
.LBB22_26:
	s_endpgm
	.section	.rodata,"a",@progbits
	.p2align	6, 0x0
	.amdhsa_kernel _ZN7rocprim17ROCPRIM_304000_NS6detail33device_block_merge_oddeven_kernelINS1_37wrapped_merge_sort_block_merge_configINS0_14default_configElN2at4cuda3cub6detail10OpaqueTypeILi1EEEEEPlSC_PSA_SD_jNS1_19radix_merge_compareILb0ELb1ElNS0_19identity_decomposerEEEEEvT0_T1_T2_T3_T4_SL_T5_
		.amdhsa_group_segment_fixed_size 0
		.amdhsa_private_segment_fixed_size 0
		.amdhsa_kernarg_size 48
		.amdhsa_user_sgpr_count 2
		.amdhsa_user_sgpr_dispatch_ptr 0
		.amdhsa_user_sgpr_queue_ptr 0
		.amdhsa_user_sgpr_kernarg_segment_ptr 1
		.amdhsa_user_sgpr_dispatch_id 0
		.amdhsa_user_sgpr_kernarg_preload_length 0
		.amdhsa_user_sgpr_kernarg_preload_offset 0
		.amdhsa_user_sgpr_private_segment_size 0
		.amdhsa_uses_dynamic_stack 0
		.amdhsa_enable_private_segment 0
		.amdhsa_system_sgpr_workgroup_id_x 1
		.amdhsa_system_sgpr_workgroup_id_y 0
		.amdhsa_system_sgpr_workgroup_id_z 0
		.amdhsa_system_sgpr_workgroup_info 0
		.amdhsa_system_vgpr_workitem_id 0
		.amdhsa_next_free_vgpr 14
		.amdhsa_next_free_sgpr 24
		.amdhsa_accum_offset 16
		.amdhsa_reserve_vcc 1
		.amdhsa_float_round_mode_32 0
		.amdhsa_float_round_mode_16_64 0
		.amdhsa_float_denorm_mode_32 3
		.amdhsa_float_denorm_mode_16_64 3
		.amdhsa_dx10_clamp 1
		.amdhsa_ieee_mode 1
		.amdhsa_fp16_overflow 0
		.amdhsa_tg_split 0
		.amdhsa_exception_fp_ieee_invalid_op 0
		.amdhsa_exception_fp_denorm_src 0
		.amdhsa_exception_fp_ieee_div_zero 0
		.amdhsa_exception_fp_ieee_overflow 0
		.amdhsa_exception_fp_ieee_underflow 0
		.amdhsa_exception_fp_ieee_inexact 0
		.amdhsa_exception_int_div_zero 0
	.end_amdhsa_kernel
	.section	.text._ZN7rocprim17ROCPRIM_304000_NS6detail33device_block_merge_oddeven_kernelINS1_37wrapped_merge_sort_block_merge_configINS0_14default_configElN2at4cuda3cub6detail10OpaqueTypeILi1EEEEEPlSC_PSA_SD_jNS1_19radix_merge_compareILb0ELb1ElNS0_19identity_decomposerEEEEEvT0_T1_T2_T3_T4_SL_T5_,"axG",@progbits,_ZN7rocprim17ROCPRIM_304000_NS6detail33device_block_merge_oddeven_kernelINS1_37wrapped_merge_sort_block_merge_configINS0_14default_configElN2at4cuda3cub6detail10OpaqueTypeILi1EEEEEPlSC_PSA_SD_jNS1_19radix_merge_compareILb0ELb1ElNS0_19identity_decomposerEEEEEvT0_T1_T2_T3_T4_SL_T5_,comdat
.Lfunc_end22:
	.size	_ZN7rocprim17ROCPRIM_304000_NS6detail33device_block_merge_oddeven_kernelINS1_37wrapped_merge_sort_block_merge_configINS0_14default_configElN2at4cuda3cub6detail10OpaqueTypeILi1EEEEEPlSC_PSA_SD_jNS1_19radix_merge_compareILb0ELb1ElNS0_19identity_decomposerEEEEEvT0_T1_T2_T3_T4_SL_T5_, .Lfunc_end22-_ZN7rocprim17ROCPRIM_304000_NS6detail33device_block_merge_oddeven_kernelINS1_37wrapped_merge_sort_block_merge_configINS0_14default_configElN2at4cuda3cub6detail10OpaqueTypeILi1EEEEEPlSC_PSA_SD_jNS1_19radix_merge_compareILb0ELb1ElNS0_19identity_decomposerEEEEEvT0_T1_T2_T3_T4_SL_T5_
                                        ; -- End function
	.section	.AMDGPU.csdata,"",@progbits
; Kernel info:
; codeLenInByte = 800
; NumSgprs: 30
; NumVgprs: 14
; NumAgprs: 0
; TotalNumVgprs: 14
; ScratchSize: 0
; MemoryBound: 0
; FloatMode: 240
; IeeeMode: 1
; LDSByteSize: 0 bytes/workgroup (compile time only)
; SGPRBlocks: 3
; VGPRBlocks: 1
; NumSGPRsForWavesPerEU: 30
; NumVGPRsForWavesPerEU: 14
; AccumOffset: 16
; Occupancy: 8
; WaveLimiterHint : 0
; COMPUTE_PGM_RSRC2:SCRATCH_EN: 0
; COMPUTE_PGM_RSRC2:USER_SGPR: 2
; COMPUTE_PGM_RSRC2:TRAP_HANDLER: 0
; COMPUTE_PGM_RSRC2:TGID_X_EN: 1
; COMPUTE_PGM_RSRC2:TGID_Y_EN: 0
; COMPUTE_PGM_RSRC2:TGID_Z_EN: 0
; COMPUTE_PGM_RSRC2:TIDIG_COMP_CNT: 0
; COMPUTE_PGM_RSRC3_GFX90A:ACCUM_OFFSET: 3
; COMPUTE_PGM_RSRC3_GFX90A:TG_SPLIT: 0
	.section	.text._ZN7rocprim17ROCPRIM_304000_NS6detail26onesweep_histograms_kernelINS1_34wrapped_radix_sort_onesweep_configINS0_14default_configElN2at4cuda3cub6detail10OpaqueTypeILi1EEEEELb0EPKlmNS0_19identity_decomposerEEEvT1_PT2_SG_SG_T3_jj,"axG",@progbits,_ZN7rocprim17ROCPRIM_304000_NS6detail26onesweep_histograms_kernelINS1_34wrapped_radix_sort_onesweep_configINS0_14default_configElN2at4cuda3cub6detail10OpaqueTypeILi1EEEEELb0EPKlmNS0_19identity_decomposerEEEvT1_PT2_SG_SG_T3_jj,comdat
	.protected	_ZN7rocprim17ROCPRIM_304000_NS6detail26onesweep_histograms_kernelINS1_34wrapped_radix_sort_onesweep_configINS0_14default_configElN2at4cuda3cub6detail10OpaqueTypeILi1EEEEELb0EPKlmNS0_19identity_decomposerEEEvT1_PT2_SG_SG_T3_jj ; -- Begin function _ZN7rocprim17ROCPRIM_304000_NS6detail26onesweep_histograms_kernelINS1_34wrapped_radix_sort_onesweep_configINS0_14default_configElN2at4cuda3cub6detail10OpaqueTypeILi1EEEEELb0EPKlmNS0_19identity_decomposerEEEvT1_PT2_SG_SG_T3_jj
	.globl	_ZN7rocprim17ROCPRIM_304000_NS6detail26onesweep_histograms_kernelINS1_34wrapped_radix_sort_onesweep_configINS0_14default_configElN2at4cuda3cub6detail10OpaqueTypeILi1EEEEELb0EPKlmNS0_19identity_decomposerEEEvT1_PT2_SG_SG_T3_jj
	.p2align	8
	.type	_ZN7rocprim17ROCPRIM_304000_NS6detail26onesweep_histograms_kernelINS1_34wrapped_radix_sort_onesweep_configINS0_14default_configElN2at4cuda3cub6detail10OpaqueTypeILi1EEEEELb0EPKlmNS0_19identity_decomposerEEEvT1_PT2_SG_SG_T3_jj,@function
_ZN7rocprim17ROCPRIM_304000_NS6detail26onesweep_histograms_kernelINS1_34wrapped_radix_sort_onesweep_configINS0_14default_configElN2at4cuda3cub6detail10OpaqueTypeILi1EEEEELb0EPKlmNS0_19identity_decomposerEEEvT1_PT2_SG_SG_T3_jj: ; @_ZN7rocprim17ROCPRIM_304000_NS6detail26onesweep_histograms_kernelINS1_34wrapped_radix_sort_onesweep_configINS0_14default_configElN2at4cuda3cub6detail10OpaqueTypeILi1EEEEELb0EPKlmNS0_19identity_decomposerEEEvT1_PT2_SG_SG_T3_jj
; %bb.0:
	s_load_dwordx8 s[64:71], s[0:1], 0x0
	s_load_dwordx2 s[72:73], s[0:1], 0x24
	s_mov_b32 s3, 0
	s_lshl_b64 s[0:1], s[2:3], 18
	s_waitcnt lgkmcnt(0)
	v_mov_b64_e32 v[2:3], s[70:71]
	v_cmp_ge_u64_e32 vcc, s[2:3], v[2:3]
	s_add_u32 s74, s64, s0
	s_addc_u32 s75, s65, s1
	s_mov_b64 s[0:1], -1
	v_lshlrev_b32_e32 v2, 3, v0
	s_cbranch_vccz .LBB23_200
; %bb.1:
	s_lshl_b32 s0, s70, 15
	s_sub_i32 s33, s68, s0
	v_mov_b32_e32 v3, 0
	v_lshl_add_u64 v[68:69], s[74:75], 0, v[2:3]
	v_cmp_gt_u32_e64 s[64:65], s33, v0
                                        ; implicit-def: $vgpr66_vgpr67
	s_and_saveexec_b64 s[0:1], s[64:65]
	s_cbranch_execz .LBB23_3
; %bb.2:
	global_load_dwordx2 v[66:67], v[68:69], off
.LBB23_3:
	s_or_b64 exec, exec, s[0:1]
	v_or_b32_e32 v1, 0x400, v0
	v_cmp_gt_u32_e64 s[62:63], s33, v1
                                        ; implicit-def: $vgpr64_vgpr65
	s_and_saveexec_b64 s[0:1], s[62:63]
	s_cbranch_execz .LBB23_5
; %bb.4:
	v_add_co_u32_e32 v4, vcc, 0x2000, v68
	s_nop 1
	v_addc_co_u32_e32 v5, vcc, 0, v69, vcc
	global_load_dwordx2 v[64:65], v[4:5], off
.LBB23_5:
	s_or_b64 exec, exec, s[0:1]
	v_or_b32_e32 v1, 0x800, v0
	v_cmp_gt_u32_e64 s[60:61], s33, v1
                                        ; implicit-def: $vgpr62_vgpr63
	s_and_saveexec_b64 s[0:1], s[60:61]
	s_cbranch_execz .LBB23_7
; %bb.6:
	v_add_co_u32_e32 v4, vcc, 0x4000, v68
	s_nop 1
	v_addc_co_u32_e32 v5, vcc, 0, v69, vcc
	global_load_dwordx2 v[62:63], v[4:5], off
.LBB23_7:
	s_or_b64 exec, exec, s[0:1]
	v_or_b32_e32 v1, 0xc00, v0
	v_cmp_gt_u32_e64 s[58:59], s33, v1
                                        ; implicit-def: $vgpr60_vgpr61
	s_and_saveexec_b64 s[0:1], s[58:59]
	s_cbranch_execz .LBB23_9
; %bb.8:
	v_add_co_u32_e32 v4, vcc, 0x6000, v68
	s_nop 1
	v_addc_co_u32_e32 v5, vcc, 0, v69, vcc
	global_load_dwordx2 v[60:61], v[4:5], off
.LBB23_9:
	s_or_b64 exec, exec, s[0:1]
	v_or_b32_e32 v1, 0x1000, v0
	v_cmp_gt_u32_e64 s[56:57], s33, v1
                                        ; implicit-def: $vgpr58_vgpr59
	s_and_saveexec_b64 s[0:1], s[56:57]
	s_cbranch_execz .LBB23_11
; %bb.10:
	v_add_co_u32_e32 v4, vcc, 0x8000, v68
	s_nop 1
	v_addc_co_u32_e32 v5, vcc, 0, v69, vcc
	global_load_dwordx2 v[58:59], v[4:5], off
.LBB23_11:
	s_or_b64 exec, exec, s[0:1]
	v_or_b32_e32 v1, 0x1400, v0
	v_cmp_gt_u32_e64 s[54:55], s33, v1
                                        ; implicit-def: $vgpr56_vgpr57
	s_and_saveexec_b64 s[0:1], s[54:55]
	s_cbranch_execz .LBB23_13
; %bb.12:
	v_add_co_u32_e32 v4, vcc, 0xa000, v68
	s_nop 1
	v_addc_co_u32_e32 v5, vcc, 0, v69, vcc
	global_load_dwordx2 v[56:57], v[4:5], off
.LBB23_13:
	s_or_b64 exec, exec, s[0:1]
	v_or_b32_e32 v1, 0x1800, v0
	v_cmp_gt_u32_e64 s[52:53], s33, v1
                                        ; implicit-def: $vgpr54_vgpr55
	s_and_saveexec_b64 s[0:1], s[52:53]
	s_cbranch_execz .LBB23_15
; %bb.14:
	v_add_co_u32_e32 v4, vcc, 0xc000, v68
	s_nop 1
	v_addc_co_u32_e32 v5, vcc, 0, v69, vcc
	global_load_dwordx2 v[54:55], v[4:5], off
.LBB23_15:
	s_or_b64 exec, exec, s[0:1]
	v_or_b32_e32 v1, 0x1c00, v0
	v_cmp_gt_u32_e64 s[50:51], s33, v1
                                        ; implicit-def: $vgpr52_vgpr53
	s_and_saveexec_b64 s[0:1], s[50:51]
	s_cbranch_execz .LBB23_17
; %bb.16:
	v_add_co_u32_e32 v4, vcc, 0xe000, v68
	s_nop 1
	v_addc_co_u32_e32 v5, vcc, 0, v69, vcc
	global_load_dwordx2 v[52:53], v[4:5], off
.LBB23_17:
	s_or_b64 exec, exec, s[0:1]
	v_or_b32_e32 v1, 0x2000, v0
	v_cmp_gt_u32_e64 s[48:49], s33, v1
                                        ; implicit-def: $vgpr50_vgpr51
	s_and_saveexec_b64 s[0:1], s[48:49]
	s_cbranch_execz .LBB23_19
; %bb.18:
	v_add_co_u32_e32 v4, vcc, 0x10000, v68
	s_nop 1
	v_addc_co_u32_e32 v5, vcc, 0, v69, vcc
	global_load_dwordx2 v[50:51], v[4:5], off
.LBB23_19:
	s_or_b64 exec, exec, s[0:1]
	v_or_b32_e32 v1, 0x2400, v0
	v_cmp_gt_u32_e64 s[46:47], s33, v1
                                        ; implicit-def: $vgpr48_vgpr49
	s_and_saveexec_b64 s[0:1], s[46:47]
	s_cbranch_execz .LBB23_21
; %bb.20:
	v_add_co_u32_e32 v4, vcc, 0x12000, v68
	s_nop 1
	v_addc_co_u32_e32 v5, vcc, 0, v69, vcc
	global_load_dwordx2 v[48:49], v[4:5], off
.LBB23_21:
	s_or_b64 exec, exec, s[0:1]
	v_or_b32_e32 v1, 0x2800, v0
	v_cmp_gt_u32_e64 s[44:45], s33, v1
                                        ; implicit-def: $vgpr46_vgpr47
	s_and_saveexec_b64 s[0:1], s[44:45]
	s_cbranch_execz .LBB23_23
; %bb.22:
	v_add_co_u32_e32 v4, vcc, 0x14000, v68
	s_nop 1
	v_addc_co_u32_e32 v5, vcc, 0, v69, vcc
	global_load_dwordx2 v[46:47], v[4:5], off
.LBB23_23:
	s_or_b64 exec, exec, s[0:1]
	v_or_b32_e32 v1, 0x2c00, v0
	v_cmp_gt_u32_e64 s[42:43], s33, v1
                                        ; implicit-def: $vgpr44_vgpr45
	s_and_saveexec_b64 s[0:1], s[42:43]
	s_cbranch_execz .LBB23_25
; %bb.24:
	v_add_co_u32_e32 v4, vcc, 0x16000, v68
	s_nop 1
	v_addc_co_u32_e32 v5, vcc, 0, v69, vcc
	global_load_dwordx2 v[44:45], v[4:5], off
.LBB23_25:
	s_or_b64 exec, exec, s[0:1]
	v_or_b32_e32 v1, 0x3000, v0
	v_cmp_gt_u32_e64 s[40:41], s33, v1
                                        ; implicit-def: $vgpr42_vgpr43
	s_and_saveexec_b64 s[0:1], s[40:41]
	s_cbranch_execz .LBB23_27
; %bb.26:
	v_add_co_u32_e32 v4, vcc, 0x18000, v68
	s_nop 1
	v_addc_co_u32_e32 v5, vcc, 0, v69, vcc
	global_load_dwordx2 v[42:43], v[4:5], off
.LBB23_27:
	s_or_b64 exec, exec, s[0:1]
	v_or_b32_e32 v1, 0x3400, v0
	v_cmp_gt_u32_e64 s[38:39], s33, v1
                                        ; implicit-def: $vgpr40_vgpr41
	s_and_saveexec_b64 s[0:1], s[38:39]
	s_cbranch_execz .LBB23_29
; %bb.28:
	v_add_co_u32_e32 v4, vcc, 0x1a000, v68
	s_nop 1
	v_addc_co_u32_e32 v5, vcc, 0, v69, vcc
	global_load_dwordx2 v[40:41], v[4:5], off
.LBB23_29:
	s_or_b64 exec, exec, s[0:1]
	v_or_b32_e32 v1, 0x3800, v0
	v_cmp_gt_u32_e64 s[36:37], s33, v1
                                        ; implicit-def: $vgpr38_vgpr39
	s_and_saveexec_b64 s[0:1], s[36:37]
	s_cbranch_execz .LBB23_31
; %bb.30:
	v_add_co_u32_e32 v4, vcc, 0x1c000, v68
	s_nop 1
	v_addc_co_u32_e32 v5, vcc, 0, v69, vcc
	global_load_dwordx2 v[38:39], v[4:5], off
.LBB23_31:
	s_or_b64 exec, exec, s[0:1]
	v_or_b32_e32 v1, 0x3c00, v0
	v_cmp_gt_u32_e64 s[34:35], s33, v1
                                        ; implicit-def: $vgpr36_vgpr37
	s_and_saveexec_b64 s[0:1], s[34:35]
	s_cbranch_execz .LBB23_33
; %bb.32:
	v_add_co_u32_e32 v4, vcc, 0x1e000, v68
	s_nop 1
	v_addc_co_u32_e32 v5, vcc, 0, v69, vcc
	global_load_dwordx2 v[36:37], v[4:5], off
.LBB23_33:
	s_or_b64 exec, exec, s[0:1]
	v_or_b32_e32 v1, 0x4000, v0
	v_cmp_gt_u32_e64 s[30:31], s33, v1
                                        ; implicit-def: $vgpr34_vgpr35
	s_and_saveexec_b64 s[0:1], s[30:31]
	s_cbranch_execz .LBB23_35
; %bb.34:
	v_add_co_u32_e32 v4, vcc, 0x20000, v68
	s_nop 1
	v_addc_co_u32_e32 v5, vcc, 0, v69, vcc
	global_load_dwordx2 v[34:35], v[4:5], off
.LBB23_35:
	s_or_b64 exec, exec, s[0:1]
	v_or_b32_e32 v1, 0x4400, v0
	v_cmp_gt_u32_e64 s[28:29], s33, v1
                                        ; implicit-def: $vgpr32_vgpr33
	s_and_saveexec_b64 s[0:1], s[28:29]
	s_cbranch_execz .LBB23_37
; %bb.36:
	v_add_co_u32_e32 v4, vcc, 0x22000, v68
	s_nop 1
	v_addc_co_u32_e32 v5, vcc, 0, v69, vcc
	global_load_dwordx2 v[32:33], v[4:5], off
.LBB23_37:
	s_or_b64 exec, exec, s[0:1]
	v_or_b32_e32 v1, 0x4800, v0
	v_cmp_gt_u32_e64 s[26:27], s33, v1
                                        ; implicit-def: $vgpr30_vgpr31
	s_and_saveexec_b64 s[0:1], s[26:27]
	s_cbranch_execz .LBB23_39
; %bb.38:
	v_add_co_u32_e32 v4, vcc, 0x24000, v68
	s_nop 1
	v_addc_co_u32_e32 v5, vcc, 0, v69, vcc
	global_load_dwordx2 v[30:31], v[4:5], off
.LBB23_39:
	s_or_b64 exec, exec, s[0:1]
	v_or_b32_e32 v1, 0x4c00, v0
	v_cmp_gt_u32_e64 s[24:25], s33, v1
                                        ; implicit-def: $vgpr28_vgpr29
	s_and_saveexec_b64 s[0:1], s[24:25]
	s_cbranch_execz .LBB23_41
; %bb.40:
	v_add_co_u32_e32 v4, vcc, 0x26000, v68
	s_nop 1
	v_addc_co_u32_e32 v5, vcc, 0, v69, vcc
	global_load_dwordx2 v[28:29], v[4:5], off
.LBB23_41:
	s_or_b64 exec, exec, s[0:1]
	v_or_b32_e32 v1, 0x5000, v0
	v_cmp_gt_u32_e64 s[22:23], s33, v1
                                        ; implicit-def: $vgpr26_vgpr27
	s_and_saveexec_b64 s[0:1], s[22:23]
	s_cbranch_execz .LBB23_43
; %bb.42:
	v_add_co_u32_e32 v4, vcc, 0x28000, v68
	s_nop 1
	v_addc_co_u32_e32 v5, vcc, 0, v69, vcc
	global_load_dwordx2 v[26:27], v[4:5], off
.LBB23_43:
	s_or_b64 exec, exec, s[0:1]
	v_or_b32_e32 v1, 0x5400, v0
	v_cmp_gt_u32_e64 s[20:21], s33, v1
                                        ; implicit-def: $vgpr24_vgpr25
	s_and_saveexec_b64 s[0:1], s[20:21]
	s_cbranch_execz .LBB23_45
; %bb.44:
	v_add_co_u32_e32 v4, vcc, 0x2a000, v68
	s_nop 1
	v_addc_co_u32_e32 v5, vcc, 0, v69, vcc
	global_load_dwordx2 v[24:25], v[4:5], off
.LBB23_45:
	s_or_b64 exec, exec, s[0:1]
	v_or_b32_e32 v1, 0x5800, v0
	v_cmp_gt_u32_e64 s[18:19], s33, v1
                                        ; implicit-def: $vgpr22_vgpr23
	s_and_saveexec_b64 s[0:1], s[18:19]
	s_cbranch_execz .LBB23_47
; %bb.46:
	v_add_co_u32_e32 v4, vcc, 0x2c000, v68
	s_nop 1
	v_addc_co_u32_e32 v5, vcc, 0, v69, vcc
	global_load_dwordx2 v[22:23], v[4:5], off
.LBB23_47:
	s_or_b64 exec, exec, s[0:1]
	v_or_b32_e32 v1, 0x5c00, v0
	v_cmp_gt_u32_e64 s[16:17], s33, v1
                                        ; implicit-def: $vgpr20_vgpr21
	s_and_saveexec_b64 s[0:1], s[16:17]
	s_cbranch_execz .LBB23_49
; %bb.48:
	v_add_co_u32_e32 v4, vcc, 0x2e000, v68
	s_nop 1
	v_addc_co_u32_e32 v5, vcc, 0, v69, vcc
	global_load_dwordx2 v[20:21], v[4:5], off
.LBB23_49:
	s_or_b64 exec, exec, s[0:1]
	v_or_b32_e32 v1, 0x6000, v0
	v_cmp_gt_u32_e64 s[14:15], s33, v1
                                        ; implicit-def: $vgpr18_vgpr19
	s_and_saveexec_b64 s[0:1], s[14:15]
	s_cbranch_execz .LBB23_51
; %bb.50:
	v_add_co_u32_e32 v4, vcc, 0x30000, v68
	s_nop 1
	v_addc_co_u32_e32 v5, vcc, 0, v69, vcc
	global_load_dwordx2 v[18:19], v[4:5], off
.LBB23_51:
	s_or_b64 exec, exec, s[0:1]
	v_or_b32_e32 v1, 0x6400, v0
	v_cmp_gt_u32_e64 s[12:13], s33, v1
                                        ; implicit-def: $vgpr16_vgpr17
	s_and_saveexec_b64 s[0:1], s[12:13]
	s_cbranch_execz .LBB23_53
; %bb.52:
	v_add_co_u32_e32 v4, vcc, 0x32000, v68
	s_nop 1
	v_addc_co_u32_e32 v5, vcc, 0, v69, vcc
	global_load_dwordx2 v[16:17], v[4:5], off
.LBB23_53:
	s_or_b64 exec, exec, s[0:1]
	v_or_b32_e32 v1, 0x6800, v0
	v_cmp_gt_u32_e64 s[10:11], s33, v1
                                        ; implicit-def: $vgpr14_vgpr15
	s_and_saveexec_b64 s[0:1], s[10:11]
	s_cbranch_execz .LBB23_55
; %bb.54:
	v_add_co_u32_e32 v4, vcc, 0x34000, v68
	s_nop 1
	v_addc_co_u32_e32 v5, vcc, 0, v69, vcc
	global_load_dwordx2 v[14:15], v[4:5], off
.LBB23_55:
	s_or_b64 exec, exec, s[0:1]
	v_or_b32_e32 v1, 0x6c00, v0
	v_cmp_gt_u32_e64 s[8:9], s33, v1
                                        ; implicit-def: $vgpr12_vgpr13
	s_and_saveexec_b64 s[0:1], s[8:9]
	s_cbranch_execz .LBB23_57
; %bb.56:
	v_add_co_u32_e32 v4, vcc, 0x36000, v68
	s_nop 1
	v_addc_co_u32_e32 v5, vcc, 0, v69, vcc
	global_load_dwordx2 v[12:13], v[4:5], off
.LBB23_57:
	s_or_b64 exec, exec, s[0:1]
	v_or_b32_e32 v1, 0x7000, v0
	v_cmp_gt_u32_e64 s[6:7], s33, v1
                                        ; implicit-def: $vgpr10_vgpr11
	s_and_saveexec_b64 s[0:1], s[6:7]
	s_cbranch_execz .LBB23_59
; %bb.58:
	v_add_co_u32_e32 v4, vcc, 0x38000, v68
	s_nop 1
	v_addc_co_u32_e32 v5, vcc, 0, v69, vcc
	global_load_dwordx2 v[10:11], v[4:5], off
.LBB23_59:
	s_or_b64 exec, exec, s[0:1]
	v_or_b32_e32 v1, 0x7400, v0
	v_cmp_gt_u32_e64 s[4:5], s33, v1
                                        ; implicit-def: $vgpr8_vgpr9
	s_and_saveexec_b64 s[0:1], s[4:5]
	s_cbranch_execz .LBB23_61
; %bb.60:
	v_add_co_u32_e32 v4, vcc, 0x3a000, v68
	s_nop 1
	v_addc_co_u32_e32 v5, vcc, 0, v69, vcc
	global_load_dwordx2 v[8:9], v[4:5], off
.LBB23_61:
	s_or_b64 exec, exec, s[0:1]
	v_or_b32_e32 v1, 0x7800, v0
	v_cmp_gt_u32_e64 s[2:3], s33, v1
                                        ; implicit-def: $vgpr6_vgpr7
	s_and_saveexec_b64 s[0:1], s[2:3]
	s_cbranch_execz .LBB23_63
; %bb.62:
	v_add_co_u32_e32 v4, vcc, 0x3c000, v68
	s_nop 1
	v_addc_co_u32_e32 v5, vcc, 0, v69, vcc
	global_load_dwordx2 v[6:7], v[4:5], off
.LBB23_63:
	s_or_b64 exec, exec, s[0:1]
	v_or_b32_e32 v1, 0x7c00, v0
	v_cmp_gt_u32_e64 s[0:1], s33, v1
                                        ; implicit-def: $vgpr4_vgpr5
	s_and_saveexec_b64 s[68:69], s[0:1]
	s_cbranch_execz .LBB23_65
; %bb.64:
	v_add_co_u32_e32 v4, vcc, 0x3e000, v68
	s_nop 1
	v_addc_co_u32_e32 v5, vcc, 0, v69, vcc
	global_load_dwordx2 v[4:5], v[4:5], off
.LBB23_65:
	s_or_b64 exec, exec, s[68:69]
	s_cmp_gt_u32 s73, s72
	v_lshlrev_b32_e32 v1, 2, v0
	v_mov_b32_e32 v3, 0
	s_cselect_b64 s[68:69], -1, 0
	s_cmp_le_u32 s73, s72
	ds_write2st64_b32 v1, v3, v3 offset1:16
	ds_write2st64_b32 v1, v3, v3 offset0:32 offset1:48
	ds_write2st64_b32 v1, v3, v3 offset0:64 offset1:80
	;; [unrolled: 1-line block ×3, first 2 shown]
	s_waitcnt lgkmcnt(0)
	s_barrier
	s_cbranch_scc1 .LBB23_194
; %bb.66:
	v_and_b32_e32 v1, 3, v0
	v_lshlrev_b32_e32 v1, 2, v1
	s_sub_i32 s33, s73, s72
	s_waitcnt vmcnt(0)
	v_xor_b32_e32 v67, 0x80000000, v67
	v_mov_b32_e32 v3, 1
	s_mov_b32 s76, s33
	v_mov_b32_e32 v68, v1
	s_mov_b32 s77, s72
	s_branch .LBB23_68
.LBB23_67:                              ;   in Loop: Header=BB23_68 Depth=1
	s_or_b64 exec, exec, s[70:71]
	s_add_i32 s77, s77, 8
	s_add_i32 s76, s76, -8
	s_cmp_lt_u32 s77, s73
	v_add_u32_e32 v68, 0x1000, v68
	s_cbranch_scc0 .LBB23_70
.LBB23_68:                              ; =>This Inner Loop Header: Depth=1
	s_and_saveexec_b64 s[70:71], s[64:65]
	s_cbranch_execz .LBB23_67
; %bb.69:                               ;   in Loop: Header=BB23_68 Depth=1
	s_min_u32 s78, s76, 8
	v_lshrrev_b64 v[70:71], s77, v[66:67]
	v_bfe_u32 v69, v70, 0, s78
	v_lshl_add_u32 v69, v69, 4, v68
	ds_add_u32 v69, v3
	s_branch .LBB23_67
.LBB23_70:
	v_xor_b32_e32 v65, 0x80000000, v65
	v_mov_b32_e32 v3, 1
	s_mov_b32 s70, s33
	v_mov_b32_e32 v66, v1
	s_mov_b32 s71, s72
	s_branch .LBB23_72
.LBB23_71:                              ;   in Loop: Header=BB23_72 Depth=1
	s_or_b64 exec, exec, s[64:65]
	s_add_i32 s71, s71, 8
	s_add_i32 s70, s70, -8
	s_cmp_lt_u32 s71, s73
	v_add_u32_e32 v66, 0x1000, v66
	s_cbranch_scc0 .LBB23_74
.LBB23_72:                              ; =>This Inner Loop Header: Depth=1
	s_and_saveexec_b64 s[64:65], s[62:63]
	s_cbranch_execz .LBB23_71
; %bb.73:                               ;   in Loop: Header=BB23_72 Depth=1
	s_min_u32 s76, s70, 8
	v_lshrrev_b64 v[68:69], s71, v[64:65]
	v_bfe_u32 v67, v68, 0, s76
	v_lshl_add_u32 v67, v67, 4, v66
	ds_add_u32 v67, v3
	s_branch .LBB23_71
.LBB23_74:
	;; [unrolled: 24-line block ×8, first 2 shown]
	v_xor_b32_e32 v51, 0x80000000, v51
	v_mov_b32_e32 v3, 1
	s_mov_b32 s52, s33
	v_mov_b32_e32 v52, v1
	s_mov_b32 s53, s72
	s_branch .LBB23_100
.LBB23_99:                              ;   in Loop: Header=BB23_100 Depth=1
	s_or_b64 exec, exec, s[50:51]
	s_add_i32 s53, s53, 8
	s_add_i32 s52, s52, -8
	s_cmp_lt_u32 s53, s73
	v_add_u32_e32 v52, 0x1000, v52
	s_cbranch_scc0 .LBB23_102
.LBB23_100:                             ; =>This Inner Loop Header: Depth=1
	s_and_saveexec_b64 s[50:51], s[48:49]
	s_cbranch_execz .LBB23_99
; %bb.101:                              ;   in Loop: Header=BB23_100 Depth=1
	s_min_u32 s54, s52, 8
	v_lshrrev_b64 v[54:55], s53, v[50:51]
	v_bfe_u32 v53, v54, 0, s54
	v_lshl_add_u32 v53, v53, 4, v52
	ds_add_u32 v53, v3
	s_branch .LBB23_99
.LBB23_102:
	v_xor_b32_e32 v49, 0x80000000, v49
	v_mov_b32_e32 v3, 1
	s_mov_b32 s50, s33
	v_mov_b32_e32 v50, v1
	s_mov_b32 s51, s72
	s_branch .LBB23_104
.LBB23_103:                             ;   in Loop: Header=BB23_104 Depth=1
	s_or_b64 exec, exec, s[48:49]
	s_add_i32 s51, s51, 8
	s_add_i32 s50, s50, -8
	s_cmp_lt_u32 s51, s73
	v_add_u32_e32 v50, 0x1000, v50
	s_cbranch_scc0 .LBB23_106
.LBB23_104:                             ; =>This Inner Loop Header: Depth=1
	s_and_saveexec_b64 s[48:49], s[46:47]
	s_cbranch_execz .LBB23_103
; %bb.105:                              ;   in Loop: Header=BB23_104 Depth=1
	s_min_u32 s52, s50, 8
	v_lshrrev_b64 v[52:53], s51, v[48:49]
	v_bfe_u32 v51, v52, 0, s52
	v_lshl_add_u32 v51, v51, 4, v50
	ds_add_u32 v51, v3
	s_branch .LBB23_103
.LBB23_106:
	v_xor_b32_e32 v47, 0x80000000, v47
	v_mov_b32_e32 v3, 1
	s_mov_b32 s48, s33
	v_mov_b32_e32 v48, v1
	s_mov_b32 s49, s72
	s_branch .LBB23_108
.LBB23_107:                             ;   in Loop: Header=BB23_108 Depth=1
	s_or_b64 exec, exec, s[46:47]
	s_add_i32 s49, s49, 8
	s_add_i32 s48, s48, -8
	s_cmp_lt_u32 s49, s73
	v_add_u32_e32 v48, 0x1000, v48
	s_cbranch_scc0 .LBB23_110
.LBB23_108:                             ; =>This Inner Loop Header: Depth=1
	s_and_saveexec_b64 s[46:47], s[44:45]
	s_cbranch_execz .LBB23_107
; %bb.109:                              ;   in Loop: Header=BB23_108 Depth=1
	s_min_u32 s50, s48, 8
	v_lshrrev_b64 v[50:51], s49, v[46:47]
	v_bfe_u32 v49, v50, 0, s50
	v_lshl_add_u32 v49, v49, 4, v48
	ds_add_u32 v49, v3
	s_branch .LBB23_107
.LBB23_110:
	;; [unrolled: 24-line block ×22, first 2 shown]
	v_xor_b32_e32 v5, 0x80000000, v5
	v_mov_b32_e32 v3, 1
	s_mov_b32 s4, s72
	s_branch .LBB23_192
.LBB23_191:                             ;   in Loop: Header=BB23_192 Depth=1
	s_or_b64 exec, exec, s[2:3]
	s_add_i32 s4, s4, 8
	s_add_i32 s33, s33, -8
	s_cmp_lt_u32 s4, s73
	v_add_u32_e32 v1, 0x1000, v1
	s_cbranch_scc0 .LBB23_194
.LBB23_192:                             ; =>This Inner Loop Header: Depth=1
	s_and_saveexec_b64 s[2:3], s[0:1]
	s_cbranch_execz .LBB23_191
; %bb.193:                              ;   in Loop: Header=BB23_192 Depth=1
	s_min_u32 s5, s33, 8
	v_lshrrev_b64 v[6:7], s4, v[4:5]
	v_bfe_u32 v6, v6, 0, s5
	v_lshl_add_u32 v6, v6, 4, v1
	ds_add_u32 v6, v3
	s_branch .LBB23_191
.LBB23_194:
	s_and_b64 vcc, exec, s[68:69]
	s_waitcnt lgkmcnt(0)
	s_barrier
	s_cbranch_vccz .LBB23_199
; %bb.195:
	s_movk_i32 s0, 0x100
	v_cmp_gt_u32_e32 vcc, s0, v0
	v_lshlrev_b32_e32 v1, 4, v0
	s_waitcnt vmcnt(0)
	v_mov_b32_e32 v5, 0
	v_mov_b32_e32 v4, v0
	s_mov_b32 s2, s72
	s_branch .LBB23_197
.LBB23_196:                             ;   in Loop: Header=BB23_197 Depth=1
	s_or_b64 exec, exec, s[0:1]
	s_add_i32 s2, s2, 8
	v_add_u32_e32 v4, 0x100, v4
	s_cmp_lt_u32 s2, s73
	v_add_u32_e32 v1, 0x1000, v1
	s_cbranch_scc0 .LBB23_199
.LBB23_197:                             ; =>This Inner Loop Header: Depth=1
	s_and_saveexec_b64 s[0:1], vcc
	s_cbranch_execz .LBB23_196
; %bb.198:                              ;   in Loop: Header=BB23_197 Depth=1
	ds_read2_b32 v[6:7], v1 offset1:1
	ds_read2_b32 v[8:9], v1 offset0:2 offset1:3
	v_lshl_add_u64 v[10:11], v[4:5], 3, s[66:67]
	s_waitcnt lgkmcnt(1)
	v_add_u32_e32 v3, v7, v6
	s_waitcnt lgkmcnt(0)
	v_add3_u32 v6, v3, v8, v9
	v_mov_b32_e32 v7, v5
	global_atomic_add_x2 v[10:11], v[6:7], off
	s_branch .LBB23_196
.LBB23_199:
	s_mov_b64 s[0:1], 0
.LBB23_200:
	s_and_b64 vcc, exec, s[0:1]
	s_cbranch_vccz .LBB23_276
; %bb.201:
	v_mov_b32_e32 v3, 0
	s_waitcnt vmcnt(0)
	v_lshl_add_u64 v[6:7], s[74:75], 0, v[2:3]
	v_add_co_u32_e32 v4, vcc, 0x2000, v6
	s_cmp_eq_u32 s72, 0
	s_nop 0
	v_addc_co_u32_e32 v5, vcc, 0, v7, vcc
	v_add_co_u32_e32 v8, vcc, 0x4000, v6
	s_cselect_b64 s[0:1], -1, 0
	s_nop 0
	v_addc_co_u32_e32 v9, vcc, 0, v7, vcc
	v_add_co_u32_e32 v10, vcc, 0x6000, v6
	s_cmp_eq_u32 s73, 64
	s_nop 0
	v_addc_co_u32_e32 v11, vcc, 0, v7, vcc
	v_add_co_u32_e32 v12, vcc, 0x8000, v6
	s_cselect_b64 s[2:3], -1, 0
	s_nop 0
	v_addc_co_u32_e32 v13, vcc, 0, v7, vcc
	v_add_co_u32_e32 v14, vcc, 0xa000, v6
	s_and_b64 s[2:3], s[0:1], s[2:3]
	s_nop 0
	v_addc_co_u32_e32 v15, vcc, 0, v7, vcc
	v_add_co_u32_e32 v16, vcc, 0xc000, v6
	s_mov_b64 s[0:1], -1
	s_nop 0
	v_addc_co_u32_e32 v17, vcc, 0, v7, vcc
	v_add_co_u32_e32 v18, vcc, 0xe000, v6
	s_nop 1
	v_addc_co_u32_e32 v19, vcc, 0, v7, vcc
	v_add_co_u32_e32 v20, vcc, 0x10000, v6
	;; [unrolled: 3-line block ×25, first 2 shown]
	s_nop 1
	v_addc_co_u32_e32 v97, vcc, 0, v7, vcc
	global_load_dwordx2 v[64:65], v[4:5], off
	global_load_dwordx2 v[62:63], v[8:9], off
	;; [unrolled: 1-line block ×15, first 2 shown]
	s_nop 0
	global_load_dwordx2 v[34:35], v[66:67], off
	global_load_dwordx2 v[32:33], v[68:69], off
	;; [unrolled: 1-line block ×16, first 2 shown]
	global_load_dwordx2 v[66:67], v2, s[74:75]
	s_and_b64 vcc, exec, s[2:3]
	v_lshlrev_b32_e32 v70, 2, v0
	s_cbranch_vccnz .LBB23_273
; %bb.202:
	s_cmp_gt_u32 s73, s72
	s_cselect_b64 s[0:1], -1, 0
	s_cmp_le_u32 s73, s72
	ds_write2st64_b32 v70, v3, v3 offset1:16
	ds_write2st64_b32 v70, v3, v3 offset0:32 offset1:48
	ds_write2st64_b32 v70, v3, v3 offset0:64 offset1:80
	;; [unrolled: 1-line block ×3, first 2 shown]
	s_waitcnt lgkmcnt(0)
	s_barrier
	s_cbranch_scc1 .LBB23_267
; %bb.203:
	v_and_b32_e32 v1, 3, v0
	v_lshlrev_b32_e32 v1, 2, v1
	s_sub_i32 s2, s73, s72
	s_waitcnt vmcnt(0)
	v_xor_b32_e32 v69, 0x80000000, v67
	v_mov_b32_e32 v68, v66
	v_mov_b32_e32 v3, 1
	s_mov_b32 s3, s2
	v_mov_b32_e32 v71, v1
	s_mov_b32 s4, s72
.LBB23_204:                             ; =>This Inner Loop Header: Depth=1
	s_min_u32 s5, s3, 8
	v_lshrrev_b64 v[72:73], s4, v[68:69]
	v_bfe_u32 v72, v72, 0, s5
	v_lshl_add_u32 v72, v72, 4, v71
	ds_add_u32 v72, v3
	s_add_i32 s4, s4, 8
	s_add_i32 s3, s3, -8
	s_cmp_lt_u32 s4, s73
	v_add_u32_e32 v71, 0x1000, v71
	s_cbranch_scc1 .LBB23_204
; %bb.205:
	v_xor_b32_e32 v69, 0x80000000, v65
	v_mov_b32_e32 v68, v64
	v_mov_b32_e32 v3, 1
	s_mov_b32 s3, s2
	v_mov_b32_e32 v71, v1
	s_mov_b32 s4, s72
.LBB23_206:                             ; =>This Inner Loop Header: Depth=1
	s_min_u32 s5, s3, 8
	v_lshrrev_b64 v[72:73], s4, v[68:69]
	v_bfe_u32 v72, v72, 0, s5
	v_lshl_add_u32 v72, v72, 4, v71
	ds_add_u32 v72, v3
	s_add_i32 s4, s4, 8
	s_add_i32 s3, s3, -8
	s_cmp_lt_u32 s4, s73
	v_add_u32_e32 v71, 0x1000, v71
	s_cbranch_scc1 .LBB23_206
; %bb.207:
	;; [unrolled: 18-line block ×31, first 2 shown]
	v_xor_b32_e32 v69, 0x80000000, v5
	v_mov_b32_e32 v68, v4
	v_mov_b32_e32 v3, 1
	s_mov_b32 s3, s72
.LBB23_266:                             ; =>This Inner Loop Header: Depth=1
	s_min_u32 s4, s2, 8
	v_lshrrev_b64 v[72:73], s3, v[68:69]
	v_bfe_u32 v71, v72, 0, s4
	v_lshl_add_u32 v71, v71, 4, v1
	ds_add_u32 v71, v3
	s_add_i32 s3, s3, 8
	s_add_i32 s2, s2, -8
	s_cmp_lt_u32 s3, s73
	v_add_u32_e32 v1, 0x1000, v1
	s_cbranch_scc1 .LBB23_266
.LBB23_267:
	s_and_b64 vcc, exec, s[0:1]
	s_waitcnt lgkmcnt(0)
	s_barrier
	s_cbranch_vccz .LBB23_272
; %bb.268:
	s_movk_i32 s0, 0x100
	v_cmp_gt_u32_e32 vcc, s0, v0
	v_lshlrev_b32_e32 v1, 4, v0
	v_mov_b32_e32 v69, 0
	v_mov_b32_e32 v68, v0
	s_branch .LBB23_270
.LBB23_269:                             ;   in Loop: Header=BB23_270 Depth=1
	s_or_b64 exec, exec, s[0:1]
	s_add_i32 s72, s72, 8
	v_add_u32_e32 v68, 0x100, v68
	s_cmp_ge_u32 s72, s73
	v_add_u32_e32 v1, 0x1000, v1
	s_cbranch_scc1 .LBB23_272
.LBB23_270:                             ; =>This Inner Loop Header: Depth=1
	s_and_saveexec_b64 s[0:1], vcc
	s_cbranch_execz .LBB23_269
; %bb.271:                              ;   in Loop: Header=BB23_270 Depth=1
	ds_read2_b32 v[72:73], v1 offset1:1
	ds_read2_b32 v[74:75], v1 offset0:2 offset1:3
	v_lshl_add_u64 v[76:77], v[68:69], 3, s[66:67]
	s_waitcnt lgkmcnt(1)
	v_add_u32_e32 v3, v73, v72
	s_waitcnt lgkmcnt(0)
	v_add3_u32 v72, v3, v74, v75
	v_mov_b32_e32 v73, v69
	global_atomic_add_x2 v[76:77], v[72:73], off
	s_branch .LBB23_269
.LBB23_272:
	s_mov_b64 s[0:1], 0
.LBB23_273:
	s_and_b64 vcc, exec, s[0:1]
	s_cbranch_vccz .LBB23_276
; %bb.274:
	v_and_b32_e32 v68, 3, v0
	s_movk_i32 s0, 0x3fc
	s_waitcnt vmcnt(0)
	v_lshlrev_b32_e32 v3, 2, v66
	v_and_or_b32 v3, v3, s0, v68
	v_mov_b32_e32 v1, 0
	v_lshlrev_b32_e32 v69, 2, v3
	v_mov_b32_e32 v3, 1
	ds_write2st64_b32 v70, v1, v1 offset1:16
	ds_write2st64_b32 v70, v1, v1 offset0:32 offset1:48
	ds_write2st64_b32 v70, v1, v1 offset0:64 offset1:80
	;; [unrolled: 1-line block ×3, first 2 shown]
	s_waitcnt lgkmcnt(0)
	s_barrier
	ds_add_u32 v69, v3
	v_bfe_u32 v69, v66, 8, 8
	v_lshl_or_b32 v69, v69, 2, v68
	v_lshlrev_b32_e32 v69, 2, v69
	ds_add_u32 v69, v3 offset:4096
	v_bfe_u32 v69, v66, 16, 8
	v_lshl_or_b32 v69, v69, 2, v68
	v_lshlrev_b32_e32 v69, 2, v69
	ds_add_u32 v69, v3 offset:8192
	v_lshrrev_b32_e32 v69, 24, v66
	v_lshl_or_b32 v69, v69, 2, v68
	v_alignbit_b32 v66, v67, v66, 30
	v_lshlrev_b32_e32 v69, 2, v69
	v_and_or_b32 v66, v66, s0, v68
	ds_add_u32 v69, v3 offset:12288
	v_lshlrev_b32_e32 v66, 2, v66
	ds_add_u32 v66, v3 offset:16384
	v_bfe_u32 v66, v67, 8, 8
	v_lshl_or_b32 v66, v66, 2, v68
	v_lshlrev_b32_e32 v66, 2, v66
	ds_add_u32 v66, v3 offset:20480
	v_bfe_u32 v66, v67, 16, 8
	v_lshl_or_b32 v66, v66, 2, v68
	v_lshlrev_b32_e32 v66, 2, v66
	ds_add_u32 v66, v3 offset:24576
	v_lshrrev_b32_e32 v67, 24, v67
	v_or_b32_e32 v66, 0x1c00, v68
	v_lshl_or_b32 v67, v67, 2, v66
	v_xor_b32_e32 v67, 0x200, v67
	v_lshlrev_b32_e32 v67, 2, v67
	ds_add_u32 v67, v3
	v_lshlrev_b32_e32 v67, 2, v64
	v_and_or_b32 v67, v67, s0, v68
	v_lshlrev_b32_e32 v67, 2, v67
	ds_add_u32 v67, v3
	v_bfe_u32 v67, v64, 8, 8
	v_lshl_or_b32 v67, v67, 2, v68
	v_lshlrev_b32_e32 v67, 2, v67
	ds_add_u32 v67, v3 offset:4096
	v_bfe_u32 v67, v64, 16, 8
	v_lshl_or_b32 v67, v67, 2, v68
	v_lshlrev_b32_e32 v67, 2, v67
	ds_add_u32 v67, v3 offset:8192
	v_lshrrev_b32_e32 v67, 24, v64
	v_lshl_or_b32 v67, v67, 2, v68
	v_alignbit_b32 v64, v65, v64, 30
	v_lshlrev_b32_e32 v67, 2, v67
	v_and_or_b32 v64, v64, s0, v68
	ds_add_u32 v67, v3 offset:12288
	v_lshlrev_b32_e32 v64, 2, v64
	ds_add_u32 v64, v3 offset:16384
	v_bfe_u32 v64, v65, 8, 8
	v_lshl_or_b32 v64, v64, 2, v68
	v_lshlrev_b32_e32 v64, 2, v64
	ds_add_u32 v64, v3 offset:20480
	v_bfe_u32 v64, v65, 16, 8
	v_lshl_or_b32 v64, v64, 2, v68
	v_lshlrev_b32_e32 v64, 2, v64
	ds_add_u32 v64, v3 offset:24576
	v_lshrrev_b32_e32 v64, 24, v65
	v_lshl_or_b32 v64, v64, 2, v66
	v_xor_b32_e32 v64, 0x200, v64
	v_lshlrev_b32_e32 v64, 2, v64
	ds_add_u32 v64, v3
	v_lshlrev_b32_e32 v64, 2, v62
	v_and_or_b32 v64, v64, s0, v68
	v_lshlrev_b32_e32 v64, 2, v64
	ds_add_u32 v64, v3
	v_bfe_u32 v64, v62, 8, 8
	v_lshl_or_b32 v64, v64, 2, v68
	v_lshlrev_b32_e32 v64, 2, v64
	ds_add_u32 v64, v3 offset:4096
	v_bfe_u32 v64, v62, 16, 8
	v_lshl_or_b32 v64, v64, 2, v68
	v_lshlrev_b32_e32 v64, 2, v64
	ds_add_u32 v64, v3 offset:8192
	v_lshrrev_b32_e32 v64, 24, v62
	v_lshl_or_b32 v64, v64, 2, v68
	v_alignbit_b32 v62, v63, v62, 30
	v_lshlrev_b32_e32 v64, 2, v64
	v_and_or_b32 v62, v62, s0, v68
	ds_add_u32 v64, v3 offset:12288
	v_lshlrev_b32_e32 v62, 2, v62
	ds_add_u32 v62, v3 offset:16384
	v_bfe_u32 v62, v63, 8, 8
	v_lshl_or_b32 v62, v62, 2, v68
	v_lshlrev_b32_e32 v62, 2, v62
	ds_add_u32 v62, v3 offset:20480
	v_bfe_u32 v62, v63, 16, 8
	v_lshl_or_b32 v62, v62, 2, v68
	v_lshlrev_b32_e32 v62, 2, v62
	ds_add_u32 v62, v3 offset:24576
	v_lshrrev_b32_e32 v62, 24, v63
	;; [unrolled: 33-line block ×31, first 2 shown]
	v_lshl_or_b32 v4, v4, 2, v66
	v_xor_b32_e32 v4, 0x200, v4
	v_lshlrev_b32_e32 v4, 2, v4
	ds_add_u32 v4, v3
	s_movk_i32 s0, 0x100
	v_cmp_gt_u32_e32 vcc, s0, v0
	s_waitcnt lgkmcnt(0)
	s_barrier
	s_and_saveexec_b64 s[0:1], vcc
	s_cbranch_execz .LBB23_276
; %bb.275:
	v_lshlrev_b32_e32 v3, 4, v0
	ds_read2_b32 v[4:5], v3 offset1:1
	ds_read2_b32 v[6:7], v3 offset0:2 offset1:3
	v_add_u32_e32 v8, 0x1000, v3
	v_add_u32_e32 v9, 0x1008, v3
	;; [unrolled: 1-line block ×3, first 2 shown]
	s_waitcnt lgkmcnt(1)
	v_add_u32_e32 v0, v5, v4
	s_waitcnt lgkmcnt(0)
	v_add3_u32 v0, v0, v6, v7
	global_atomic_add_x2 v2, v[0:1], s[66:67]
	ds_read2_b32 v[4:5], v8 offset1:1
	ds_read2_b32 v[6:7], v9 offset1:1
	v_add_u32_e32 v8, 0x2000, v3
	v_add_u32_e32 v9, 0x2008, v3
	s_waitcnt lgkmcnt(1)
	v_add_u32_e32 v0, v5, v4
	s_waitcnt lgkmcnt(0)
	v_add3_u32 v0, v0, v6, v7
	global_atomic_add_x2 v2, v[0:1], s[66:67] offset:2048
	ds_read2_b32 v[4:5], v8 offset1:1
	ds_read2_b32 v[6:7], v9 offset1:1
	v_or_b32_e32 v8, 0x1000, v2
	v_add_u32_e32 v9, 0x3000, v3
	s_waitcnt lgkmcnt(1)
	v_add_u32_e32 v0, v5, v4
	s_waitcnt lgkmcnt(0)
	v_add3_u32 v0, v0, v6, v7
	global_atomic_add_x2 v8, v[0:1], s[66:67]
	ds_read2_b32 v[4:5], v9 offset1:1
	ds_read2_b32 v[6:7], v10 offset1:1
	v_or_b32_e32 v8, 0x1800, v2
	v_or_b32_e32 v9, 0x4000, v3
	v_or_b32_e32 v10, 0x4008, v3
	s_waitcnt lgkmcnt(1)
	v_add_u32_e32 v0, v5, v4
	s_waitcnt lgkmcnt(0)
	v_add3_u32 v0, v0, v6, v7
	global_atomic_add_x2 v8, v[0:1], s[66:67]
	ds_read2_b32 v[4:5], v9 offset1:1
	ds_read2_b32 v[6:7], v10 offset1:1
	v_or_b32_e32 v8, 0x2000, v2
	v_add_u32_e32 v9, 0x5000, v3
	v_add_u32_e32 v10, 0x5008, v3
	s_waitcnt lgkmcnt(1)
	v_add_u32_e32 v0, v5, v4
	s_waitcnt lgkmcnt(0)
	v_add3_u32 v0, v0, v6, v7
	global_atomic_add_x2 v8, v[0:1], s[66:67]
	ds_read2_b32 v[4:5], v9 offset1:1
	ds_read2_b32 v[6:7], v10 offset1:1
	v_or_b32_e32 v8, 0x2800, v2
	v_add_u32_e32 v9, 0x6000, v3
	v_add_u32_e32 v10, 0x6008, v3
	;; [unrolled: 10-line block ×3, first 2 shown]
	s_waitcnt lgkmcnt(1)
	v_add_u32_e32 v0, v5, v4
	s_waitcnt lgkmcnt(0)
	v_add3_u32 v0, v0, v6, v7
	global_atomic_add_x2 v8, v[0:1], s[66:67]
	ds_read2_b32 v[4:5], v9 offset1:1
	ds_read2_b32 v[6:7], v3 offset1:1
	v_or_b32_e32 v2, 0x3800, v2
	s_waitcnt lgkmcnt(1)
	v_add_u32_e32 v0, v5, v4
	s_waitcnt lgkmcnt(0)
	v_add3_u32 v0, v0, v6, v7
	global_atomic_add_x2 v2, v[0:1], s[66:67]
.LBB23_276:
	s_endpgm
	.section	.rodata,"a",@progbits
	.p2align	6, 0x0
	.amdhsa_kernel _ZN7rocprim17ROCPRIM_304000_NS6detail26onesweep_histograms_kernelINS1_34wrapped_radix_sort_onesweep_configINS0_14default_configElN2at4cuda3cub6detail10OpaqueTypeILi1EEEEELb0EPKlmNS0_19identity_decomposerEEEvT1_PT2_SG_SG_T3_jj
		.amdhsa_group_segment_fixed_size 32768
		.amdhsa_private_segment_fixed_size 0
		.amdhsa_kernarg_size 44
		.amdhsa_user_sgpr_count 2
		.amdhsa_user_sgpr_dispatch_ptr 0
		.amdhsa_user_sgpr_queue_ptr 0
		.amdhsa_user_sgpr_kernarg_segment_ptr 1
		.amdhsa_user_sgpr_dispatch_id 0
		.amdhsa_user_sgpr_kernarg_preload_length 0
		.amdhsa_user_sgpr_kernarg_preload_offset 0
		.amdhsa_user_sgpr_private_segment_size 0
		.amdhsa_uses_dynamic_stack 0
		.amdhsa_enable_private_segment 0
		.amdhsa_system_sgpr_workgroup_id_x 1
		.amdhsa_system_sgpr_workgroup_id_y 0
		.amdhsa_system_sgpr_workgroup_id_z 0
		.amdhsa_system_sgpr_workgroup_info 0
		.amdhsa_system_vgpr_workitem_id 0
		.amdhsa_next_free_vgpr 98
		.amdhsa_next_free_sgpr 79
		.amdhsa_accum_offset 100
		.amdhsa_reserve_vcc 1
		.amdhsa_float_round_mode_32 0
		.amdhsa_float_round_mode_16_64 0
		.amdhsa_float_denorm_mode_32 3
		.amdhsa_float_denorm_mode_16_64 3
		.amdhsa_dx10_clamp 1
		.amdhsa_ieee_mode 1
		.amdhsa_fp16_overflow 0
		.amdhsa_tg_split 0
		.amdhsa_exception_fp_ieee_invalid_op 0
		.amdhsa_exception_fp_denorm_src 0
		.amdhsa_exception_fp_ieee_div_zero 0
		.amdhsa_exception_fp_ieee_overflow 0
		.amdhsa_exception_fp_ieee_underflow 0
		.amdhsa_exception_fp_ieee_inexact 0
		.amdhsa_exception_int_div_zero 0
	.end_amdhsa_kernel
	.section	.text._ZN7rocprim17ROCPRIM_304000_NS6detail26onesweep_histograms_kernelINS1_34wrapped_radix_sort_onesweep_configINS0_14default_configElN2at4cuda3cub6detail10OpaqueTypeILi1EEEEELb0EPKlmNS0_19identity_decomposerEEEvT1_PT2_SG_SG_T3_jj,"axG",@progbits,_ZN7rocprim17ROCPRIM_304000_NS6detail26onesweep_histograms_kernelINS1_34wrapped_radix_sort_onesweep_configINS0_14default_configElN2at4cuda3cub6detail10OpaqueTypeILi1EEEEELb0EPKlmNS0_19identity_decomposerEEEvT1_PT2_SG_SG_T3_jj,comdat
.Lfunc_end23:
	.size	_ZN7rocprim17ROCPRIM_304000_NS6detail26onesweep_histograms_kernelINS1_34wrapped_radix_sort_onesweep_configINS0_14default_configElN2at4cuda3cub6detail10OpaqueTypeILi1EEEEELb0EPKlmNS0_19identity_decomposerEEEvT1_PT2_SG_SG_T3_jj, .Lfunc_end23-_ZN7rocprim17ROCPRIM_304000_NS6detail26onesweep_histograms_kernelINS1_34wrapped_radix_sort_onesweep_configINS0_14default_configElN2at4cuda3cub6detail10OpaqueTypeILi1EEEEELb0EPKlmNS0_19identity_decomposerEEEvT1_PT2_SG_SG_T3_jj
                                        ; -- End function
	.section	.AMDGPU.csdata,"",@progbits
; Kernel info:
; codeLenInByte = 16768
; NumSgprs: 85
; NumVgprs: 98
; NumAgprs: 0
; TotalNumVgprs: 98
; ScratchSize: 0
; MemoryBound: 0
; FloatMode: 240
; IeeeMode: 1
; LDSByteSize: 32768 bytes/workgroup (compile time only)
; SGPRBlocks: 10
; VGPRBlocks: 12
; NumSGPRsForWavesPerEU: 85
; NumVGPRsForWavesPerEU: 98
; AccumOffset: 100
; Occupancy: 4
; WaveLimiterHint : 1
; COMPUTE_PGM_RSRC2:SCRATCH_EN: 0
; COMPUTE_PGM_RSRC2:USER_SGPR: 2
; COMPUTE_PGM_RSRC2:TRAP_HANDLER: 0
; COMPUTE_PGM_RSRC2:TGID_X_EN: 1
; COMPUTE_PGM_RSRC2:TGID_Y_EN: 0
; COMPUTE_PGM_RSRC2:TGID_Z_EN: 0
; COMPUTE_PGM_RSRC2:TIDIG_COMP_CNT: 0
; COMPUTE_PGM_RSRC3_GFX90A:ACCUM_OFFSET: 24
; COMPUTE_PGM_RSRC3_GFX90A:TG_SPLIT: 0
	.section	.text._ZN7rocprim17ROCPRIM_304000_NS6detail25onesweep_iteration_kernelINS1_34wrapped_radix_sort_onesweep_configINS0_14default_configElN2at4cuda3cub6detail10OpaqueTypeILi1EEEEELb0EPKlPlPKSA_PSA_mNS0_19identity_decomposerEEEvT1_T2_T3_T4_jPT5_SO_PNS1_23onesweep_lookback_stateET6_jjj,"axG",@progbits,_ZN7rocprim17ROCPRIM_304000_NS6detail25onesweep_iteration_kernelINS1_34wrapped_radix_sort_onesweep_configINS0_14default_configElN2at4cuda3cub6detail10OpaqueTypeILi1EEEEELb0EPKlPlPKSA_PSA_mNS0_19identity_decomposerEEEvT1_T2_T3_T4_jPT5_SO_PNS1_23onesweep_lookback_stateET6_jjj,comdat
	.protected	_ZN7rocprim17ROCPRIM_304000_NS6detail25onesweep_iteration_kernelINS1_34wrapped_radix_sort_onesweep_configINS0_14default_configElN2at4cuda3cub6detail10OpaqueTypeILi1EEEEELb0EPKlPlPKSA_PSA_mNS0_19identity_decomposerEEEvT1_T2_T3_T4_jPT5_SO_PNS1_23onesweep_lookback_stateET6_jjj ; -- Begin function _ZN7rocprim17ROCPRIM_304000_NS6detail25onesweep_iteration_kernelINS1_34wrapped_radix_sort_onesweep_configINS0_14default_configElN2at4cuda3cub6detail10OpaqueTypeILi1EEEEELb0EPKlPlPKSA_PSA_mNS0_19identity_decomposerEEEvT1_T2_T3_T4_jPT5_SO_PNS1_23onesweep_lookback_stateET6_jjj
	.globl	_ZN7rocprim17ROCPRIM_304000_NS6detail25onesweep_iteration_kernelINS1_34wrapped_radix_sort_onesweep_configINS0_14default_configElN2at4cuda3cub6detail10OpaqueTypeILi1EEEEELb0EPKlPlPKSA_PSA_mNS0_19identity_decomposerEEEvT1_T2_T3_T4_jPT5_SO_PNS1_23onesweep_lookback_stateET6_jjj
	.p2align	8
	.type	_ZN7rocprim17ROCPRIM_304000_NS6detail25onesweep_iteration_kernelINS1_34wrapped_radix_sort_onesweep_configINS0_14default_configElN2at4cuda3cub6detail10OpaqueTypeILi1EEEEELb0EPKlPlPKSA_PSA_mNS0_19identity_decomposerEEEvT1_T2_T3_T4_jPT5_SO_PNS1_23onesweep_lookback_stateET6_jjj,@function
_ZN7rocprim17ROCPRIM_304000_NS6detail25onesweep_iteration_kernelINS1_34wrapped_radix_sort_onesweep_configINS0_14default_configElN2at4cuda3cub6detail10OpaqueTypeILi1EEEEELb0EPKlPlPKSA_PSA_mNS0_19identity_decomposerEEEvT1_T2_T3_T4_jPT5_SO_PNS1_23onesweep_lookback_stateET6_jjj: ; @_ZN7rocprim17ROCPRIM_304000_NS6detail25onesweep_iteration_kernelINS1_34wrapped_radix_sort_onesweep_configINS0_14default_configElN2at4cuda3cub6detail10OpaqueTypeILi1EEEEELb0EPKlPlPKSA_PSA_mNS0_19identity_decomposerEEEvT1_T2_T3_T4_jPT5_SO_PNS1_23onesweep_lookback_stateET6_jjj
; %bb.0:
	s_load_dwordx4 s[44:47], s[0:1], 0x44
	s_load_dwordx8 s[36:43], s[0:1], 0x0
	s_load_dwordx4 s[28:31], s[0:1], 0x28
	s_load_dwordx2 s[48:49], s[0:1], 0x38
	s_mul_i32 s34, s2, 0x1800
	s_waitcnt lgkmcnt(0)
	s_cmp_ge_u32 s2, s46
	v_mbcnt_lo_u32_b32 v1, -1, 0
	s_cbranch_scc0 .LBB24_86
; %bb.1:
	s_load_dword s3, s[0:1], 0x20
	s_mul_i32 s33, s46, 0xffffe800
	s_mov_b32 s35, 0
	v_and_b32_e32 v2, 0x3ff, v0
	s_lshl_b64 s[4:5], s[34:35], 3
	s_waitcnt lgkmcnt(0)
	s_add_i32 s33, s33, s3
	s_add_u32 s6, s36, s4
	v_mbcnt_hi_u32_b32 v4, -1, v1
	v_and_b32_e32 v3, 0x3c0, v2
	v_mov_b32_e32 v5, 0
	s_addc_u32 s7, s37, s5
	s_mov_b32 s4, -1
	v_mul_u32_u24_e32 v6, 6, v3
	v_lshlrev_b32_e32 v8, 3, v4
	v_mov_b32_e32 v9, v5
	s_brev_b32 s5, -2
	v_lshl_add_u64 v[8:9], s[6:7], 0, v[8:9]
	v_lshlrev_b32_e32 v10, 3, v6
	v_mov_b32_e32 v11, v5
	v_or_b32_e32 v3, v4, v6
	v_lshl_add_u64 v[20:21], v[8:9], 0, v[10:11]
	v_cmp_gt_u32_e32 vcc, s33, v3
	v_mov_b64_e32 v[8:9], s[4:5]
	s_and_saveexec_b64 s[6:7], vcc
	s_cbranch_execz .LBB24_3
; %bb.2:
	global_load_dwordx2 v[8:9], v[20:21], off
.LBB24_3:
	s_or_b64 exec, exec, s[6:7]
	v_add_u32_e32 v7, 64, v3
	v_cmp_gt_u32_e64 s[26:27], s33, v7
	v_mov_b64_e32 v[10:11], s[4:5]
	s_and_saveexec_b64 s[4:5], s[26:27]
	s_cbranch_execz .LBB24_5
; %bb.4:
	global_load_dwordx2 v[10:11], v[20:21], off offset:512
.LBB24_5:
	s_or_b64 exec, exec, s[4:5]
	s_mov_b32 s8, -1
	v_add_u32_e32 v7, 0x80, v3
	s_brev_b32 s9, -2
	v_cmp_gt_u32_e64 s[4:5], s33, v7
	v_mov_b64_e32 v[12:13], s[8:9]
	s_and_saveexec_b64 s[6:7], s[4:5]
	s_cbranch_execz .LBB24_7
; %bb.6:
	global_load_dwordx2 v[12:13], v[20:21], off offset:1024
.LBB24_7:
	s_or_b64 exec, exec, s[6:7]
	v_add_u32_e32 v7, 0xc0, v3
	v_cmp_gt_u32_e64 s[6:7], s33, v7
	v_mov_b64_e32 v[14:15], s[8:9]
	s_and_saveexec_b64 s[8:9], s[6:7]
	s_cbranch_execz .LBB24_9
; %bb.8:
	global_load_dwordx2 v[14:15], v[20:21], off offset:1536
.LBB24_9:
	s_or_b64 exec, exec, s[8:9]
	s_mov_b32 s12, -1
	v_add_u32_e32 v7, 0x100, v3
	s_brev_b32 s13, -2
	v_cmp_gt_u32_e64 s[8:9], s33, v7
	v_mov_b64_e32 v[16:17], s[12:13]
	s_and_saveexec_b64 s[10:11], s[8:9]
	s_cbranch_execz .LBB24_11
; %bb.10:
	global_load_dwordx2 v[16:17], v[20:21], off offset:2048
.LBB24_11:
	s_or_b64 exec, exec, s[10:11]
	v_add_u32_e32 v3, 0x140, v3
	v_cmp_gt_u32_e64 s[10:11], s33, v3
	v_mov_b64_e32 v[18:19], s[12:13]
	s_and_saveexec_b64 s[12:13], s[10:11]
	s_cbranch_execz .LBB24_13
; %bb.12:
	global_load_dwordx2 v[18:19], v[20:21], off offset:2560
.LBB24_13:
	s_or_b64 exec, exec, s[12:13]
	s_load_dword s12, s[0:1], 0x5c
	s_load_dword s3, s[0:1], 0x50
	s_add_u32 s13, s0, 0x50
	s_addc_u32 s14, s1, 0
	v_mov_b32_e32 v21, 0
	s_waitcnt lgkmcnt(0)
	s_lshr_b32 s15, s12, 16
	s_cmp_lt_u32 s2, s3
	s_cselect_b32 s12, 12, 18
	s_add_u32 s12, s13, s12
	s_addc_u32 s13, s14, 0
	global_load_ushort v7, v21, s[12:13]
	s_waitcnt vmcnt(1)
	v_xor_b32_e32 v9, 0x80000000, v9
	s_lshl_b32 s12, -1, s45
	v_lshrrev_b64 v[22:23], s44, v[8:9]
	s_not_b32 s35, s12
	v_bfe_u32 v20, v0, 10, 10
	v_bfe_u32 v25, v0, 20, 10
	v_and_b32_e32 v37, s35, v22
	v_mad_u32_u24 v36, v25, s15, v20
	v_and_b32_e32 v20, 1, v37
	v_lshlrev_b32_e32 v25, 30, v37
	v_mov_b32_e32 v24, v21
	v_lshlrev_b32_e32 v27, 29, v37
	v_lshl_add_u64 v[22:23], v[20:21], 0, -1
	v_cmp_ne_u32_e64 s[12:13], 0, v20
	v_not_b32_e32 v20, v25
	v_mov_b32_e32 v26, v21
	v_mov_b32_e32 v28, v21
	v_lshlrev_b32_e32 v29, 28, v37
	v_cmp_gt_i64_e64 s[14:15], 0, v[24:25]
	v_not_b32_e32 v24, v27
	v_xor_b32_e32 v23, s13, v23
	v_ashrrev_i32_e32 v20, 31, v20
	v_mov_b32_e32 v30, v21
	v_lshlrev_b32_e32 v31, 27, v37
	v_cmp_gt_i64_e64 s[16:17], 0, v[26:27]
	v_cmp_gt_i64_e64 s[18:19], 0, v[28:29]
	v_not_b32_e32 v25, v29
	v_xor_b32_e32 v22, s12, v22
	v_ashrrev_i32_e32 v24, 31, v24
	v_and_b32_e32 v23, exec_hi, v23
	v_xor_b32_e32 v29, s15, v20
	v_lshlrev_b32_e32 v33, 26, v37
	v_cmp_gt_i64_e64 s[20:21], 0, v[30:31]
	v_not_b32_e32 v26, v31
	v_ashrrev_i32_e32 v25, 31, v25
	v_and_b32_e32 v22, exec_lo, v22
	v_xor_b32_e32 v20, s14, v20
	v_xor_b32_e32 v30, s17, v24
	v_and_b32_e32 v23, v23, v29
	v_mov_b32_e32 v32, v21
	v_lshlrev_b32_e32 v35, 25, v37
	v_not_b32_e32 v27, v33
	v_ashrrev_i32_e32 v26, 31, v26
	v_xor_b32_e32 v31, s19, v25
	v_and_b32_e32 v20, v22, v20
	v_and_b32_e32 v22, v23, v30
	v_mov_b32_e32 v34, v21
	v_cmp_gt_i64_e64 s[22:23], 0, v[32:33]
	v_not_b32_e32 v28, v35
	v_ashrrev_i32_e32 v27, 31, v27
	v_xor_b32_e32 v32, s21, v26
	v_and_b32_e32 v22, v22, v31
	v_mul_u32_u24_e32 v3, 5, v2
	v_cmp_gt_i64_e64 s[24:25], 0, v[34:35]
	v_ashrrev_i32_e32 v28, 31, v28
	v_xor_b32_e32 v33, s23, v27
	v_and_b32_e32 v22, v22, v32
	v_lshlrev_b32_e32 v3, 2, v3
	v_xor_b32_e32 v24, s16, v24
	v_xor_b32_e32 v34, s25, v28
	v_and_b32_e32 v22, v22, v33
	v_xor_b32_e32 v25, s18, v25
	v_and_b32_e32 v20, v20, v24
	v_and_b32_e32 v24, v22, v34
	v_xor_b32_e32 v26, s20, v26
	v_and_b32_e32 v20, v20, v25
	v_xor_b32_e32 v27, s22, v27
	;; [unrolled: 2-line block ×3, first 2 shown]
	v_and_b32_e32 v20, v20, v27
	v_and_b32_e32 v20, v20, v28
	v_lshl_add_u32 v38, v37, 4, v37
	ds_write2_b32 v3, v21, v21 offset0:16 offset1:17
	ds_write2_b32 v3, v21, v21 offset0:18 offset1:19
	ds_write_b32 v3, v21 offset:80
	s_waitcnt lgkmcnt(0)
	s_barrier
	s_waitcnt lgkmcnt(0)
	; wave barrier
	s_waitcnt vmcnt(0)
	v_mad_u64_u32 v[22:23], s[12:13], v36, v7, v[2:3]
	v_lshrrev_b32_e32 v32, 6, v22
	v_lshlrev_b32_e32 v23, 24, v37
	v_mov_b32_e32 v22, v21
	v_cmp_gt_i64_e64 s[12:13], 0, v[22:23]
	v_not_b32_e32 v22, v23
	v_ashrrev_i32_e32 v22, 31, v22
	v_xor_b32_e32 v23, s13, v22
	v_xor_b32_e32 v22, s12, v22
	v_and_b32_e32 v22, v20, v22
	v_and_b32_e32 v23, v24, v23
	v_mbcnt_lo_u32_b32 v20, v22, 0
	v_mbcnt_hi_u32_b32 v24, v23, v20
	v_cmp_eq_u32_e64 s[12:13], 0, v24
	v_cmp_ne_u64_e64 s[14:15], 0, v[22:23]
	v_add_lshl_u32 v7, v32, v38, 2
	s_and_b64 s[14:15], s[14:15], s[12:13]
	s_and_saveexec_b64 s[12:13], s[14:15]
	s_cbranch_execz .LBB24_15
; %bb.14:
	v_bcnt_u32_b32 v20, v22, 0
	v_bcnt_u32_b32 v20, v23, v20
	ds_write_b32 v7, v20 offset:64
.LBB24_15:
	s_or_b64 exec, exec, s[12:13]
	v_xor_b32_e32 v11, 0x80000000, v11
	v_lshrrev_b64 v[22:23], s44, v[10:11]
	v_and_b32_e32 v27, s35, v22
	v_lshl_add_u32 v20, v27, 4, v27
	v_add_lshl_u32 v26, v32, v20, 2
	v_and_b32_e32 v20, 1, v27
	v_lshl_add_u64 v[22:23], v[20:21], 0, -1
	v_cmp_ne_u32_e64 s[12:13], 0, v20
	; wave barrier
	s_nop 1
	v_xor_b32_e32 v22, s12, v22
	v_xor_b32_e32 v20, s13, v23
	v_and_b32_e32 v28, exec_lo, v22
	v_lshlrev_b32_e32 v23, 30, v27
	v_mov_b32_e32 v22, v21
	v_cmp_gt_i64_e64 s[12:13], 0, v[22:23]
	v_not_b32_e32 v22, v23
	v_ashrrev_i32_e32 v22, 31, v22
	v_and_b32_e32 v20, exec_hi, v20
	v_xor_b32_e32 v23, s13, v22
	v_xor_b32_e32 v22, s12, v22
	v_and_b32_e32 v20, v20, v23
	v_and_b32_e32 v28, v28, v22
	v_lshlrev_b32_e32 v23, 29, v27
	v_mov_b32_e32 v22, v21
	v_cmp_gt_i64_e64 s[12:13], 0, v[22:23]
	v_not_b32_e32 v22, v23
	v_ashrrev_i32_e32 v22, 31, v22
	v_xor_b32_e32 v23, s13, v22
	v_xor_b32_e32 v22, s12, v22
	v_and_b32_e32 v20, v20, v23
	v_and_b32_e32 v28, v28, v22
	v_lshlrev_b32_e32 v23, 28, v27
	v_mov_b32_e32 v22, v21
	v_cmp_gt_i64_e64 s[12:13], 0, v[22:23]
	v_not_b32_e32 v22, v23
	v_ashrrev_i32_e32 v22, 31, v22
	;; [unrolled: 9-line block ×5, first 2 shown]
	v_xor_b32_e32 v23, s13, v22
	v_xor_b32_e32 v22, s12, v22
	v_and_b32_e32 v20, v20, v23
	v_lshlrev_b32_e32 v23, 24, v27
	v_and_b32_e32 v28, v28, v22
	v_mov_b32_e32 v22, v21
	v_not_b32_e32 v21, v23
	v_cmp_gt_i64_e64 s[12:13], 0, v[22:23]
	v_ashrrev_i32_e32 v21, 31, v21
	ds_read_b32 v25, v26 offset:64
	v_xor_b32_e32 v22, s13, v21
	v_xor_b32_e32 v23, s12, v21
	v_and_b32_e32 v21, v20, v22
	v_and_b32_e32 v20, v28, v23
	v_mbcnt_lo_u32_b32 v22, v20, 0
	v_mbcnt_hi_u32_b32 v27, v21, v22
	v_cmp_eq_u32_e64 s[12:13], 0, v27
	v_cmp_ne_u64_e64 s[14:15], 0, v[20:21]
	s_and_b64 s[14:15], s[14:15], s[12:13]
	; wave barrier
	s_and_saveexec_b64 s[12:13], s[14:15]
	s_cbranch_execz .LBB24_17
; %bb.16:
	v_bcnt_u32_b32 v20, v20, 0
	v_bcnt_u32_b32 v20, v21, v20
	s_waitcnt lgkmcnt(0)
	v_add_u32_e32 v20, v25, v20
	ds_write_b32 v26, v20 offset:64
.LBB24_17:
	s_or_b64 exec, exec, s[12:13]
	v_xor_b32_e32 v13, 0x80000000, v13
	v_lshrrev_b64 v[20:21], s44, v[12:13]
	v_and_b32_e32 v30, s35, v20
	v_lshl_add_u32 v20, v30, 4, v30
	v_add_lshl_u32 v29, v32, v20, 2
	v_and_b32_e32 v20, 1, v30
	v_mov_b32_e32 v21, 0
	v_lshl_add_u64 v[22:23], v[20:21], 0, -1
	v_cmp_ne_u32_e64 s[12:13], 0, v20
	; wave barrier
	s_nop 1
	v_xor_b32_e32 v22, s12, v22
	v_xor_b32_e32 v20, s13, v23
	v_and_b32_e32 v31, exec_lo, v22
	v_lshlrev_b32_e32 v23, 30, v30
	v_mov_b32_e32 v22, v21
	v_cmp_gt_i64_e64 s[12:13], 0, v[22:23]
	v_not_b32_e32 v22, v23
	v_ashrrev_i32_e32 v22, 31, v22
	v_and_b32_e32 v20, exec_hi, v20
	v_xor_b32_e32 v23, s13, v22
	v_xor_b32_e32 v22, s12, v22
	v_and_b32_e32 v20, v20, v23
	v_and_b32_e32 v31, v31, v22
	v_lshlrev_b32_e32 v23, 29, v30
	v_mov_b32_e32 v22, v21
	v_cmp_gt_i64_e64 s[12:13], 0, v[22:23]
	v_not_b32_e32 v22, v23
	v_ashrrev_i32_e32 v22, 31, v22
	v_xor_b32_e32 v23, s13, v22
	v_xor_b32_e32 v22, s12, v22
	v_and_b32_e32 v20, v20, v23
	v_and_b32_e32 v31, v31, v22
	v_lshlrev_b32_e32 v23, 28, v30
	v_mov_b32_e32 v22, v21
	v_cmp_gt_i64_e64 s[12:13], 0, v[22:23]
	v_not_b32_e32 v22, v23
	v_ashrrev_i32_e32 v22, 31, v22
	;; [unrolled: 9-line block ×6, first 2 shown]
	v_xor_b32_e32 v23, s13, v22
	v_xor_b32_e32 v22, s12, v22
	ds_read_b32 v28, v29 offset:64
	v_and_b32_e32 v22, v31, v22
	v_and_b32_e32 v23, v20, v23
	v_mbcnt_lo_u32_b32 v20, v22, 0
	v_mbcnt_hi_u32_b32 v30, v23, v20
	v_cmp_eq_u32_e64 s[12:13], 0, v30
	v_cmp_ne_u64_e64 s[14:15], 0, v[22:23]
	s_and_b64 s[14:15], s[14:15], s[12:13]
	; wave barrier
	s_and_saveexec_b64 s[12:13], s[14:15]
	s_cbranch_execz .LBB24_19
; %bb.18:
	v_bcnt_u32_b32 v20, v22, 0
	v_bcnt_u32_b32 v20, v23, v20
	s_waitcnt lgkmcnt(0)
	v_add_u32_e32 v20, v28, v20
	ds_write_b32 v29, v20 offset:64
.LBB24_19:
	s_or_b64 exec, exec, s[12:13]
	v_xor_b32_e32 v15, 0x80000000, v15
	v_lshrrev_b64 v[22:23], s44, v[14:15]
	v_and_b32_e32 v34, s35, v22
	v_lshl_add_u32 v20, v34, 4, v34
	v_add_lshl_u32 v33, v32, v20, 2
	v_and_b32_e32 v20, 1, v34
	v_lshl_add_u64 v[22:23], v[20:21], 0, -1
	v_cmp_ne_u32_e64 s[12:13], 0, v20
	; wave barrier
	s_nop 1
	v_xor_b32_e32 v22, s12, v22
	v_xor_b32_e32 v20, s13, v23
	v_and_b32_e32 v35, exec_lo, v22
	v_lshlrev_b32_e32 v23, 30, v34
	v_mov_b32_e32 v22, v21
	v_cmp_gt_i64_e64 s[12:13], 0, v[22:23]
	v_not_b32_e32 v22, v23
	v_ashrrev_i32_e32 v22, 31, v22
	v_and_b32_e32 v20, exec_hi, v20
	v_xor_b32_e32 v23, s13, v22
	v_xor_b32_e32 v22, s12, v22
	v_and_b32_e32 v20, v20, v23
	v_and_b32_e32 v35, v35, v22
	v_lshlrev_b32_e32 v23, 29, v34
	v_mov_b32_e32 v22, v21
	v_cmp_gt_i64_e64 s[12:13], 0, v[22:23]
	v_not_b32_e32 v22, v23
	v_ashrrev_i32_e32 v22, 31, v22
	v_xor_b32_e32 v23, s13, v22
	v_xor_b32_e32 v22, s12, v22
	v_and_b32_e32 v20, v20, v23
	v_and_b32_e32 v35, v35, v22
	v_lshlrev_b32_e32 v23, 28, v34
	v_mov_b32_e32 v22, v21
	v_cmp_gt_i64_e64 s[12:13], 0, v[22:23]
	v_not_b32_e32 v22, v23
	v_ashrrev_i32_e32 v22, 31, v22
	;; [unrolled: 9-line block ×5, first 2 shown]
	v_xor_b32_e32 v23, s13, v22
	v_xor_b32_e32 v22, s12, v22
	v_and_b32_e32 v20, v20, v23
	v_lshlrev_b32_e32 v23, 24, v34
	v_and_b32_e32 v35, v35, v22
	v_mov_b32_e32 v22, v21
	v_not_b32_e32 v21, v23
	v_cmp_gt_i64_e64 s[12:13], 0, v[22:23]
	v_ashrrev_i32_e32 v21, 31, v21
	ds_read_b32 v31, v33 offset:64
	v_xor_b32_e32 v22, s13, v21
	v_xor_b32_e32 v23, s12, v21
	v_and_b32_e32 v21, v20, v22
	v_and_b32_e32 v20, v35, v23
	v_mbcnt_lo_u32_b32 v22, v20, 0
	v_mbcnt_hi_u32_b32 v34, v21, v22
	v_cmp_eq_u32_e64 s[12:13], 0, v34
	v_cmp_ne_u64_e64 s[14:15], 0, v[20:21]
	s_and_b64 s[14:15], s[14:15], s[12:13]
	; wave barrier
	s_and_saveexec_b64 s[12:13], s[14:15]
	s_cbranch_execz .LBB24_21
; %bb.20:
	v_bcnt_u32_b32 v20, v20, 0
	v_bcnt_u32_b32 v20, v21, v20
	s_waitcnt lgkmcnt(0)
	v_add_u32_e32 v20, v31, v20
	ds_write_b32 v33, v20 offset:64
.LBB24_21:
	s_or_b64 exec, exec, s[12:13]
	v_xor_b32_e32 v17, 0x80000000, v17
	v_lshrrev_b64 v[20:21], s44, v[16:17]
	v_and_b32_e32 v37, s35, v20
	v_lshl_add_u32 v20, v37, 4, v37
	v_add_lshl_u32 v36, v32, v20, 2
	v_and_b32_e32 v20, 1, v37
	v_mov_b32_e32 v21, 0
	v_lshl_add_u64 v[22:23], v[20:21], 0, -1
	v_cmp_ne_u32_e64 s[12:13], 0, v20
	; wave barrier
	s_nop 1
	v_xor_b32_e32 v22, s12, v22
	v_xor_b32_e32 v20, s13, v23
	v_and_b32_e32 v38, exec_lo, v22
	v_lshlrev_b32_e32 v23, 30, v37
	v_mov_b32_e32 v22, v21
	v_cmp_gt_i64_e64 s[12:13], 0, v[22:23]
	v_not_b32_e32 v22, v23
	v_ashrrev_i32_e32 v22, 31, v22
	v_and_b32_e32 v20, exec_hi, v20
	v_xor_b32_e32 v23, s13, v22
	v_xor_b32_e32 v22, s12, v22
	v_and_b32_e32 v20, v20, v23
	v_and_b32_e32 v38, v38, v22
	v_lshlrev_b32_e32 v23, 29, v37
	v_mov_b32_e32 v22, v21
	v_cmp_gt_i64_e64 s[12:13], 0, v[22:23]
	v_not_b32_e32 v22, v23
	v_ashrrev_i32_e32 v22, 31, v22
	v_xor_b32_e32 v23, s13, v22
	v_xor_b32_e32 v22, s12, v22
	v_and_b32_e32 v20, v20, v23
	v_and_b32_e32 v38, v38, v22
	v_lshlrev_b32_e32 v23, 28, v37
	v_mov_b32_e32 v22, v21
	v_cmp_gt_i64_e64 s[12:13], 0, v[22:23]
	v_not_b32_e32 v22, v23
	v_ashrrev_i32_e32 v22, 31, v22
	v_xor_b32_e32 v23, s13, v22
	v_xor_b32_e32 v22, s12, v22
	v_and_b32_e32 v20, v20, v23
	v_and_b32_e32 v38, v38, v22
	v_lshlrev_b32_e32 v23, 27, v37
	v_mov_b32_e32 v22, v21
	v_cmp_gt_i64_e64 s[12:13], 0, v[22:23]
	v_not_b32_e32 v22, v23
	v_ashrrev_i32_e32 v22, 31, v22
	v_xor_b32_e32 v23, s13, v22
	v_xor_b32_e32 v22, s12, v22
	v_and_b32_e32 v20, v20, v23
	v_and_b32_e32 v38, v38, v22
	v_lshlrev_b32_e32 v23, 26, v37
	v_mov_b32_e32 v22, v21
	v_cmp_gt_i64_e64 s[12:13], 0, v[22:23]
	v_not_b32_e32 v22, v23
	v_ashrrev_i32_e32 v22, 31, v22
	v_xor_b32_e32 v23, s13, v22
	v_xor_b32_e32 v22, s12, v22
	v_and_b32_e32 v20, v20, v23
	v_and_b32_e32 v38, v38, v22
	v_lshlrev_b32_e32 v23, 25, v37
	v_mov_b32_e32 v22, v21
	v_cmp_gt_i64_e64 s[12:13], 0, v[22:23]
	v_not_b32_e32 v22, v23
	v_ashrrev_i32_e32 v22, 31, v22
	v_xor_b32_e32 v23, s13, v22
	v_xor_b32_e32 v22, s12, v22
	v_and_b32_e32 v20, v20, v23
	v_and_b32_e32 v38, v38, v22
	v_lshlrev_b32_e32 v23, 24, v37
	v_mov_b32_e32 v22, v21
	v_cmp_gt_i64_e64 s[12:13], 0, v[22:23]
	v_not_b32_e32 v22, v23
	v_ashrrev_i32_e32 v22, 31, v22
	v_xor_b32_e32 v23, s13, v22
	v_xor_b32_e32 v22, s12, v22
	ds_read_b32 v35, v36 offset:64
	v_and_b32_e32 v22, v38, v22
	v_and_b32_e32 v23, v20, v23
	v_mbcnt_lo_u32_b32 v20, v22, 0
	v_mbcnt_hi_u32_b32 v37, v23, v20
	v_cmp_eq_u32_e64 s[12:13], 0, v37
	v_cmp_ne_u64_e64 s[14:15], 0, v[22:23]
	s_and_b64 s[14:15], s[14:15], s[12:13]
	; wave barrier
	s_and_saveexec_b64 s[12:13], s[14:15]
	s_cbranch_execz .LBB24_23
; %bb.22:
	v_bcnt_u32_b32 v20, v22, 0
	v_bcnt_u32_b32 v20, v23, v20
	s_waitcnt lgkmcnt(0)
	v_add_u32_e32 v20, v35, v20
	ds_write_b32 v36, v20 offset:64
.LBB24_23:
	s_or_b64 exec, exec, s[12:13]
	v_xor_b32_e32 v19, 0x80000000, v19
	v_lshrrev_b64 v[22:23], s44, v[18:19]
	v_and_b32_e32 v40, s35, v22
	v_lshl_add_u32 v20, v40, 4, v40
	v_add_lshl_u32 v39, v32, v20, 2
	v_and_b32_e32 v20, 1, v40
	v_lshl_add_u64 v[22:23], v[20:21], 0, -1
	v_cmp_ne_u32_e64 s[12:13], 0, v20
	; wave barrier
	s_nop 1
	v_xor_b32_e32 v22, s12, v22
	v_xor_b32_e32 v20, s13, v23
	v_and_b32_e32 v41, exec_lo, v22
	v_lshlrev_b32_e32 v23, 30, v40
	v_mov_b32_e32 v22, v21
	v_cmp_gt_i64_e64 s[12:13], 0, v[22:23]
	v_not_b32_e32 v22, v23
	v_ashrrev_i32_e32 v22, 31, v22
	v_and_b32_e32 v20, exec_hi, v20
	v_xor_b32_e32 v23, s13, v22
	v_xor_b32_e32 v22, s12, v22
	v_and_b32_e32 v20, v20, v23
	v_and_b32_e32 v41, v41, v22
	v_lshlrev_b32_e32 v23, 29, v40
	v_mov_b32_e32 v22, v21
	v_cmp_gt_i64_e64 s[12:13], 0, v[22:23]
	v_not_b32_e32 v22, v23
	v_ashrrev_i32_e32 v22, 31, v22
	v_xor_b32_e32 v23, s13, v22
	v_xor_b32_e32 v22, s12, v22
	v_and_b32_e32 v20, v20, v23
	v_and_b32_e32 v41, v41, v22
	v_lshlrev_b32_e32 v23, 28, v40
	v_mov_b32_e32 v22, v21
	v_cmp_gt_i64_e64 s[12:13], 0, v[22:23]
	v_not_b32_e32 v22, v23
	v_ashrrev_i32_e32 v22, 31, v22
	;; [unrolled: 9-line block ×5, first 2 shown]
	v_xor_b32_e32 v23, s13, v22
	v_xor_b32_e32 v22, s12, v22
	v_and_b32_e32 v20, v20, v23
	v_lshlrev_b32_e32 v23, 24, v40
	v_and_b32_e32 v41, v41, v22
	v_mov_b32_e32 v22, v21
	v_not_b32_e32 v21, v23
	v_cmp_gt_i64_e64 s[12:13], 0, v[22:23]
	v_ashrrev_i32_e32 v21, 31, v21
	ds_read_b32 v32, v39 offset:64
	v_xor_b32_e32 v22, s13, v21
	v_xor_b32_e32 v23, s12, v21
	v_and_b32_e32 v21, v20, v22
	v_and_b32_e32 v20, v41, v23
	v_mbcnt_lo_u32_b32 v22, v20, 0
	v_mbcnt_hi_u32_b32 v40, v21, v22
	v_cmp_eq_u32_e64 s[12:13], 0, v40
	v_cmp_ne_u64_e64 s[14:15], 0, v[20:21]
	v_add_u32_e32 v38, 64, v3
	s_and_b64 s[14:15], s[14:15], s[12:13]
	; wave barrier
	s_and_saveexec_b64 s[12:13], s[14:15]
	s_cbranch_execz .LBB24_25
; %bb.24:
	v_bcnt_u32_b32 v20, v20, 0
	v_bcnt_u32_b32 v20, v21, v20
	s_waitcnt lgkmcnt(0)
	v_add_u32_e32 v20, v32, v20
	ds_write_b32 v39, v20 offset:64
.LBB24_25:
	s_or_b64 exec, exec, s[12:13]
	; wave barrier
	s_waitcnt lgkmcnt(0)
	s_barrier
	ds_read2_b32 v[22:23], v3 offset0:16 offset1:17
	ds_read2_b32 v[20:21], v38 offset0:2 offset1:3
	ds_read_b32 v41, v38 offset:16
	v_cmp_lt_u32_e64 s[20:21], 31, v4
	s_waitcnt lgkmcnt(1)
	v_add3_u32 v42, v23, v22, v20
	s_waitcnt lgkmcnt(0)
	v_add3_u32 v41, v42, v21, v41
	v_and_b32_e32 v42, 15, v4
	v_cmp_eq_u32_e64 s[12:13], 0, v42
	v_mov_b32_dpp v43, v41 row_shr:1 row_mask:0xf bank_mask:0xf
	v_cmp_lt_u32_e64 s[14:15], 1, v42
	v_cndmask_b32_e64 v43, v43, 0, s[12:13]
	v_add_u32_e32 v41, v43, v41
	v_cmp_lt_u32_e64 s[16:17], 3, v42
	v_cmp_lt_u32_e64 s[18:19], 7, v42
	v_mov_b32_dpp v43, v41 row_shr:2 row_mask:0xf bank_mask:0xf
	v_cndmask_b32_e64 v43, 0, v43, s[14:15]
	v_add_u32_e32 v41, v41, v43
	s_nop 1
	v_mov_b32_dpp v43, v41 row_shr:4 row_mask:0xf bank_mask:0xf
	v_cndmask_b32_e64 v43, 0, v43, s[16:17]
	v_add_u32_e32 v41, v41, v43
	s_nop 1
	v_mov_b32_dpp v43, v41 row_shr:8 row_mask:0xf bank_mask:0xf
	v_cndmask_b32_e64 v42, 0, v43, s[18:19]
	v_add_u32_e32 v41, v41, v42
	v_bfe_i32 v43, v4, 4, 1
	s_nop 0
	v_mov_b32_dpp v42, v41 row_bcast:15 row_mask:0xf bank_mask:0xf
	v_and_b32_e32 v42, v43, v42
	v_add_u32_e32 v41, v41, v42
	v_and_b32_e32 v43, 63, v2
	s_nop 0
	v_mov_b32_dpp v42, v41 row_bcast:31 row_mask:0xf bank_mask:0xf
	v_cndmask_b32_e64 v42, 0, v42, s[20:21]
	v_add_u32_e32 v41, v41, v42
	v_lshrrev_b32_e32 v42, 6, v2
	v_cmp_eq_u32_e64 s[20:21], 63, v43
	s_and_saveexec_b64 s[22:23], s[20:21]
	s_cbranch_execz .LBB24_27
; %bb.26:
	v_lshlrev_b32_e32 v43, 2, v42
	ds_write_b32 v43, v41
.LBB24_27:
	s_or_b64 exec, exec, s[22:23]
	v_cmp_gt_u32_e64 s[20:21], 16, v2
	s_waitcnt lgkmcnt(0)
	s_barrier
	s_and_saveexec_b64 s[22:23], s[20:21]
	s_cbranch_execz .LBB24_29
; %bb.28:
	v_lshlrev_b32_e32 v43, 2, v2
	ds_read_b32 v44, v43
	s_waitcnt lgkmcnt(0)
	s_nop 0
	v_mov_b32_dpp v45, v44 row_shr:1 row_mask:0xf bank_mask:0xf
	v_cndmask_b32_e64 v45, v45, 0, s[12:13]
	v_add_u32_e32 v44, v45, v44
	s_nop 1
	v_mov_b32_dpp v45, v44 row_shr:2 row_mask:0xf bank_mask:0xf
	v_cndmask_b32_e64 v45, 0, v45, s[14:15]
	v_add_u32_e32 v44, v44, v45
	;; [unrolled: 4-line block ×4, first 2 shown]
	ds_write_b32 v43, v44
.LBB24_29:
	s_or_b64 exec, exec, s[22:23]
	v_cmp_lt_u32_e64 s[12:13], 63, v2
	v_mov_b32_e32 v43, 0
	s_waitcnt lgkmcnt(0)
	s_barrier
	s_and_saveexec_b64 s[14:15], s[12:13]
	s_cbranch_execz .LBB24_31
; %bb.30:
	v_lshl_add_u32 v42, v42, 2, -4
	ds_read_b32 v43, v42
.LBB24_31:
	s_or_b64 exec, exec, s[14:15]
	v_add_u32_e32 v42, -1, v4
	v_and_b32_e32 v44, 64, v4
	v_cmp_lt_i32_e64 s[12:13], v42, v44
	s_waitcnt lgkmcnt(0)
	v_add_u32_e32 v41, v43, v41
	v_cndmask_b32_e64 v42, v42, v4, s[12:13]
	v_lshlrev_b32_e32 v42, 2, v42
	ds_bpermute_b32 v41, v42, v41
	v_cmp_eq_u32_e64 s[12:13], 0, v4
	s_waitcnt lgkmcnt(0)
	s_nop 0
	v_cndmask_b32_e64 v41, v41, v43, s[12:13]
	v_cmp_ne_u32_e64 s[12:13], 0, v2
	s_nop 1
	v_cndmask_b32_e64 v41, 0, v41, s[12:13]
	v_add_u32_e32 v22, v41, v22
	v_add_u32_e32 v23, v22, v23
	;; [unrolled: 1-line block ×4, first 2 shown]
	ds_write2_b32 v3, v41, v22 offset0:16 offset1:17
	ds_write2_b32 v38, v23, v20 offset0:2 offset1:3
	ds_write_b32 v38, v21 offset:16
	s_waitcnt lgkmcnt(0)
	s_barrier
	ds_read_b32 v3, v7 offset:64
	ds_read_b32 v23, v26 offset:64
	;; [unrolled: 1-line block ×6, first 2 shown]
	s_movk_i32 s12, 0x100
	v_cmp_gt_u32_e64 s[12:13], s12, v2
	v_mov_b64_e32 v[20:21], 0
                                        ; implicit-def: $vgpr22
	s_and_saveexec_b64 s[16:17], s[12:13]
	s_cbranch_execz .LBB24_35
; %bb.32:
	v_mul_u32_u24_e32 v7, 17, v2
	v_lshlrev_b32_e32 v21, 2, v7
	ds_read_b32 v20, v21 offset:64
	s_movk_i32 s14, 0xff
	v_cmp_ne_u32_e64 s[14:15], s14, v2
	v_mov_b32_e32 v7, 0x1800
	s_and_saveexec_b64 s[18:19], s[14:15]
	s_cbranch_execz .LBB24_34
; %bb.33:
	ds_read_b32 v7, v21 offset:132
.LBB24_34:
	s_or_b64 exec, exec, s[18:19]
	s_waitcnt lgkmcnt(0)
	v_sub_u32_e32 v22, v7, v20
	v_mov_b32_e32 v21, 0
.LBB24_35:
	s_or_b64 exec, exec, s[16:17]
	s_waitcnt lgkmcnt(5)
	v_add_u32_e32 v3, v3, v24
	s_waitcnt lgkmcnt(4)
	v_add3_u32 v23, v27, v25, v23
	s_waitcnt lgkmcnt(3)
	v_add3_u32 v24, v30, v28, v26
	v_lshlrev_b32_e32 v28, 3, v3
	s_waitcnt lgkmcnt(0)
	s_barrier
	ds_write_b64 v28, v[8:9] offset:2048
	v_lshlrev_b32_e32 v8, 3, v23
	v_add3_u32 v25, v34, v31, v29
	ds_write_b64 v8, v[10:11] offset:2048
	v_lshlrev_b32_e32 v8, 3, v24
	v_add3_u32 v26, v37, v35, v33
	;; [unrolled: 3-line block ×3, first 2 shown]
	ds_write_b64 v8, v[14:15] offset:2048
	v_lshlrev_b32_e32 v8, 3, v26
	v_mov_b32_e32 v7, v5
	ds_write_b64 v8, v[16:17] offset:2048
	v_lshlrev_b32_e32 v8, 3, v27
	ds_write_b64 v8, v[18:19] offset:2048
	s_waitcnt lgkmcnt(0)
	s_barrier
	s_and_saveexec_b64 s[16:17], s[12:13]
	s_cbranch_execz .LBB24_45
; %bb.36:
	v_lshl_or_b32 v10, s2, 8, v2
	v_mov_b32_e32 v11, 0
	v_lshl_add_u64 v[8:9], v[10:11], 2, s[48:49]
	v_or_b32_e32 v10, 2.0, v22
	s_mov_b64 s[18:19], 0
	s_brev_b32 s24, 1
	s_mov_b32 s25, s2
	v_mov_b32_e32 v14, 0
	global_store_dword v[8:9], v10, off sc1
                                        ; implicit-def: $sgpr14_sgpr15
	s_branch .LBB24_38
.LBB24_37:                              ;   in Loop: Header=BB24_38 Depth=1
	s_or_b64 exec, exec, s[20:21]
	v_and_b32_e32 v12, 0x3fffffff, v15
	v_add_u32_e32 v14, v12, v14
	v_cmp_eq_u32_e64 s[14:15], s24, v10
	s_and_b64 s[20:21], exec, s[14:15]
	s_or_b64 s[18:19], s[20:21], s[18:19]
	s_andn2_b64 exec, exec, s[18:19]
	s_cbranch_execz .LBB24_44
.LBB24_38:                              ; =>This Loop Header: Depth=1
                                        ;     Child Loop BB24_41 Depth 2
	s_or_b64 s[14:15], s[14:15], exec
	s_cmp_eq_u32 s25, 0
	s_cbranch_scc1 .LBB24_43
; %bb.39:                               ;   in Loop: Header=BB24_38 Depth=1
	s_add_i32 s25, s25, -1
	v_lshl_or_b32 v10, s25, 8, v2
	v_lshl_add_u64 v[12:13], v[10:11], 2, s[48:49]
	global_load_dword v15, v[12:13], off sc1
	s_waitcnt vmcnt(0)
	v_and_b32_e32 v10, -2.0, v15
	v_cmp_eq_u32_e64 s[14:15], 0, v10
	s_and_saveexec_b64 s[20:21], s[14:15]
	s_cbranch_execz .LBB24_37
; %bb.40:                               ;   in Loop: Header=BB24_38 Depth=1
	s_mov_b64 s[22:23], 0
.LBB24_41:                              ;   Parent Loop BB24_38 Depth=1
                                        ; =>  This Inner Loop Header: Depth=2
	global_load_dword v15, v[12:13], off sc1
	s_waitcnt vmcnt(0)
	v_and_b32_e32 v10, -2.0, v15
	v_cmp_ne_u32_e64 s[14:15], 0, v10
	s_or_b64 s[22:23], s[14:15], s[22:23]
	s_andn2_b64 exec, exec, s[22:23]
	s_cbranch_execnz .LBB24_41
; %bb.42:                               ;   in Loop: Header=BB24_38 Depth=1
	s_or_b64 exec, exec, s[22:23]
	s_branch .LBB24_37
.LBB24_43:                              ;   in Loop: Header=BB24_38 Depth=1
                                        ; implicit-def: $sgpr25
	s_and_b64 s[20:21], exec, s[14:15]
	s_or_b64 s[18:19], s[20:21], s[18:19]
	s_andn2_b64 exec, exec, s[18:19]
	s_cbranch_execnz .LBB24_38
.LBB24_44:
	s_or_b64 exec, exec, s[18:19]
	v_add_u32_e32 v10, v14, v22
	v_or_b32_e32 v10, 0x80000000, v10
	global_store_dword v[8:9], v10, off sc1
	v_lshlrev_b32_e32 v12, 3, v2
	global_load_dwordx2 v[8:9], v12, s[28:29]
	v_sub_co_u32_e64 v10, s[14:15], v14, v20
	s_nop 1
	v_subb_co_u32_e64 v11, s[14:15], 0, v21, s[14:15]
	s_waitcnt vmcnt(0)
	v_lshl_add_u64 v[8:9], v[10:11], 0, v[8:9]
	ds_write_b64 v12, v[8:9]
.LBB24_45:
	s_or_b64 exec, exec, s[16:17]
	v_cmp_gt_u32_e64 s[14:15], s33, v2
	v_lshlrev_b32_e32 v10, 3, v2
	s_waitcnt lgkmcnt(0)
	s_barrier
	s_and_saveexec_b64 s[16:17], s[14:15]
	s_cbranch_execz .LBB24_47
; %bb.46:
	ds_read_b64 v[8:9], v10 offset:2048
	s_waitcnt lgkmcnt(0)
	v_lshrrev_b64 v[12:13], s44, v[8:9]
	v_and_b32_e32 v11, s35, v12
	v_lshlrev_b32_e32 v11, 3, v11
	ds_read_b64 v[12:13], v11
	v_mov_b32_e32 v11, 0
	v_xor_b32_e32 v9, 0x80000000, v9
	s_waitcnt lgkmcnt(0)
	v_lshl_add_u64 v[12:13], v[12:13], 3, s[38:39]
	v_lshl_add_u64 v[12:13], v[12:13], 0, v[10:11]
	global_store_dwordx2 v[12:13], v[8:9], off
.LBB24_47:
	s_or_b64 exec, exec, s[16:17]
	v_or_b32_e32 v8, 0x400, v2
	v_cmp_gt_u32_e64 s[16:17], s33, v8
	s_and_saveexec_b64 s[18:19], s[16:17]
	s_cbranch_execz .LBB24_49
; %bb.48:
	ds_read_b64 v[12:13], v10 offset:10240
	v_lshlrev_b32_e32 v8, 3, v8
	s_waitcnt lgkmcnt(0)
	v_lshrrev_b64 v[14:15], s44, v[12:13]
	v_and_b32_e32 v9, s35, v14
	v_lshlrev_b32_e32 v9, 3, v9
	ds_read_b64 v[14:15], v9
	v_mov_b32_e32 v9, 0
	v_xor_b32_e32 v13, 0x80000000, v13
	s_waitcnt lgkmcnt(0)
	v_lshl_add_u64 v[14:15], v[14:15], 3, s[38:39]
	v_lshl_add_u64 v[8:9], v[14:15], 0, v[8:9]
	global_store_dwordx2 v[8:9], v[12:13], off
.LBB24_49:
	s_or_b64 exec, exec, s[18:19]
	v_or_b32_e32 v8, 0x800, v2
	v_cmp_gt_u32_e64 s[18:19], s33, v8
	s_and_saveexec_b64 s[20:21], s[18:19]
	s_cbranch_execz .LBB24_51
; %bb.50:
	ds_read_b64 v[12:13], v10 offset:18432
	v_lshlrev_b32_e32 v8, 3, v8
	s_waitcnt lgkmcnt(0)
	v_lshrrev_b64 v[14:15], s44, v[12:13]
	v_and_b32_e32 v9, s35, v14
	v_lshlrev_b32_e32 v9, 3, v9
	ds_read_b64 v[14:15], v9
	v_mov_b32_e32 v9, 0
	v_xor_b32_e32 v13, 0x80000000, v13
	s_waitcnt lgkmcnt(0)
	v_lshl_add_u64 v[14:15], v[14:15], 3, s[38:39]
	v_lshl_add_u64 v[8:9], v[14:15], 0, v[8:9]
	global_store_dwordx2 v[8:9], v[12:13], off
.LBB24_51:
	;; [unrolled: 20-line block ×3, first 2 shown]
	s_or_b64 exec, exec, s[22:23]
	v_or_b32_e32 v8, 0x1000, v2
	v_cmp_gt_u32_e64 s[22:23], s33, v8
	s_and_saveexec_b64 s[24:25], s[22:23]
	s_cbranch_execz .LBB24_55
; %bb.54:
	ds_read_b64 v[12:13], v10 offset:34816
	v_lshlrev_b32_e32 v16, 3, v8
	v_mov_b32_e32 v17, 0
	s_waitcnt lgkmcnt(0)
	v_lshrrev_b64 v[14:15], s44, v[12:13]
	v_and_b32_e32 v9, s35, v14
	v_lshlrev_b32_e32 v9, 3, v9
	ds_read_b64 v[14:15], v9
	v_xor_b32_e32 v13, 0x80000000, v13
	s_waitcnt lgkmcnt(0)
	v_lshl_add_u64 v[14:15], v[14:15], 3, s[38:39]
	v_lshl_add_u64 v[14:15], v[14:15], 0, v[16:17]
	global_store_dwordx2 v[14:15], v[12:13], off
.LBB24_55:
	s_or_b64 exec, exec, s[24:25]
	v_or_b32_e32 v12, 0x1400, v2
	v_cmp_gt_u32_e64 s[24:25], s33, v12
	s_and_saveexec_b64 s[46:47], s[24:25]
	s_cbranch_execz .LBB24_57
; %bb.56:
	ds_read_b64 v[14:15], v10 offset:43008
	v_lshlrev_b32_e32 v18, 3, v12
	v_mov_b32_e32 v19, 0
	s_waitcnt lgkmcnt(0)
	v_lshrrev_b64 v[16:17], s44, v[14:15]
	v_and_b32_e32 v9, s35, v16
	v_lshlrev_b32_e32 v9, 3, v9
	ds_read_b64 v[16:17], v9
	v_xor_b32_e32 v15, 0x80000000, v15
	s_waitcnt lgkmcnt(0)
	v_lshl_add_u64 v[16:17], v[16:17], 3, s[38:39]
	v_lshl_add_u64 v[16:17], v[16:17], 0, v[18:19]
	global_store_dwordx2 v[16:17], v[14:15], off
.LBB24_57:
	s_or_b64 exec, exec, s[46:47]
	s_add_u32 s46, s40, s34
	s_addc_u32 s47, s41, 0
	v_lshl_add_u64 v[4:5], s[46:47], 0, v[4:5]
	v_lshl_add_u64 v[4:5], v[4:5], 0, v[6:7]
                                        ; implicit-def: $vgpr6
	s_and_saveexec_b64 s[46:47], vcc
	s_xor_b64 s[46:47], exec, s[46:47]
	s_cbranch_execnz .LBB24_127
; %bb.58:
	s_or_b64 exec, exec, s[46:47]
                                        ; implicit-def: $vgpr7
	s_and_saveexec_b64 s[46:47], s[26:27]
	s_cbranch_execnz .LBB24_128
.LBB24_59:
	s_or_b64 exec, exec, s[46:47]
                                        ; implicit-def: $vgpr9
	s_and_saveexec_b64 s[26:27], s[4:5]
	s_cbranch_execnz .LBB24_129
.LBB24_60:
	s_or_b64 exec, exec, s[26:27]
                                        ; implicit-def: $vgpr11
	s_and_saveexec_b64 s[4:5], s[6:7]
	s_cbranch_execnz .LBB24_130
.LBB24_61:
	s_or_b64 exec, exec, s[4:5]
                                        ; implicit-def: $vgpr15
	s_and_saveexec_b64 s[4:5], s[8:9]
	s_cbranch_execnz .LBB24_131
.LBB24_62:
	s_or_b64 exec, exec, s[4:5]
                                        ; implicit-def: $vgpr17
	s_and_saveexec_b64 s[4:5], s[10:11]
	s_cbranch_execz .LBB24_64
.LBB24_63:
	global_load_ubyte v17, v[4:5], off offset:320
.LBB24_64:
	s_or_b64 exec, exec, s[4:5]
	v_mov_b32_e32 v13, 0
	v_mov_b32_e32 v18, 0
	s_and_saveexec_b64 s[4:5], s[14:15]
	s_cbranch_execz .LBB24_66
; %bb.65:
	ds_read_b64 v[4:5], v10 offset:2048
	s_waitcnt lgkmcnt(0)
	v_lshrrev_b64 v[4:5], s44, v[4:5]
	v_and_b32_e32 v18, s35, v4
.LBB24_66:
	s_or_b64 exec, exec, s[4:5]
	s_and_saveexec_b64 s[4:5], s[16:17]
	s_cbranch_execz .LBB24_68
; %bb.67:
	ds_read_b64 v[4:5], v10 offset:10240
	s_waitcnt lgkmcnt(0)
	v_lshrrev_b64 v[4:5], s44, v[4:5]
	v_and_b32_e32 v13, s35, v4
.LBB24_68:
	s_or_b64 exec, exec, s[4:5]
	v_mov_b32_e32 v5, 0
	v_mov_b32_e32 v16, 0
	s_and_saveexec_b64 s[4:5], s[18:19]
	s_cbranch_execz .LBB24_70
; %bb.69:
	ds_read_b64 v[28:29], v10 offset:18432
	s_waitcnt lgkmcnt(0)
	v_lshrrev_b64 v[28:29], s44, v[28:29]
	v_and_b32_e32 v16, s35, v28
.LBB24_70:
	s_or_b64 exec, exec, s[4:5]
	s_and_saveexec_b64 s[4:5], s[20:21]
	s_cbranch_execz .LBB24_72
; %bb.71:
	ds_read_b64 v[4:5], v10 offset:26624
	s_waitcnt lgkmcnt(0)
	v_lshrrev_b64 v[4:5], s44, v[4:5]
	v_and_b32_e32 v5, s35, v4
.LBB24_72:
	;; [unrolled: 20-line block ×3, first 2 shown]
	s_or_b64 exec, exec, s[4:5]
	s_barrier
	s_waitcnt vmcnt(0)
	ds_write_b8 v3, v6 offset:2048
	ds_write_b8 v23, v7 offset:2048
	;; [unrolled: 1-line block ×6, first 2 shown]
	s_waitcnt lgkmcnt(0)
	s_barrier
	s_and_saveexec_b64 s[4:5], s[14:15]
	s_cbranch_execnz .LBB24_132
; %bb.77:
	s_or_b64 exec, exec, s[4:5]
	s_and_saveexec_b64 s[4:5], s[16:17]
	s_cbranch_execnz .LBB24_133
.LBB24_78:
	s_or_b64 exec, exec, s[4:5]
	s_and_saveexec_b64 s[4:5], s[18:19]
	s_cbranch_execnz .LBB24_134
.LBB24_79:
	s_or_b64 exec, exec, s[4:5]
	s_and_saveexec_b64 s[4:5], s[20:21]
	s_cbranch_execnz .LBB24_135
.LBB24_80:
	s_or_b64 exec, exec, s[4:5]
	s_and_saveexec_b64 s[4:5], s[22:23]
	s_cbranch_execnz .LBB24_136
.LBB24_81:
	s_or_b64 exec, exec, s[4:5]
	s_and_saveexec_b64 s[4:5], s[24:25]
	s_cbranch_execz .LBB24_83
.LBB24_82:
	v_lshlrev_b32_e32 v3, 3, v4
	ds_read_b64 v[4:5], v3
	ds_read_u8 v3, v2 offset:7168
	v_mov_b32_e32 v13, 0
	s_waitcnt lgkmcnt(1)
	v_lshl_add_u64 v[4:5], s[42:43], 0, v[4:5]
	v_lshl_add_u64 v[4:5], v[4:5], 0, v[12:13]
	s_waitcnt lgkmcnt(0)
	global_store_byte v[4:5], v3, off
.LBB24_83:
	s_or_b64 exec, exec, s[4:5]
	s_add_i32 s3, s3, -1
	s_cmp_eq_u32 s2, s3
	s_cselect_b64 s[4:5], -1, 0
	s_and_b64 s[6:7], s[12:13], s[4:5]
	s_mov_b64 s[4:5], 0
	s_mov_b64 s[10:11], 0
                                        ; implicit-def: $vgpr4_vgpr5
	s_and_saveexec_b64 s[8:9], s[6:7]
	s_xor_b64 s[6:7], exec, s[8:9]
; %bb.84:
	v_mov_b32_e32 v23, 0
	s_mov_b64 s[10:11], exec
	v_lshl_add_u64 v[4:5], v[20:21], 0, v[22:23]
	v_mov_b32_e32 v3, v23
; %bb.85:
	s_or_b64 exec, exec, s[6:7]
	s_and_b64 vcc, exec, s[4:5]
	s_cbranch_vccnz .LBB24_87
	s_branch .LBB24_124
.LBB24_86:
	s_mov_b64 s[10:11], 0
                                        ; implicit-def: $vgpr4_vgpr5
                                        ; implicit-def: $vgpr2_vgpr3
	s_cbranch_execz .LBB24_124
.LBB24_87:
	s_mov_b32 s35, 0
	v_and_b32_e32 v2, 0x3ff, v0
	s_lshl_b64 s[4:5], s[34:35], 3
	s_add_u32 s4, s36, s4
	v_mov_b32_e32 v5, 0
	v_mbcnt_hi_u32_b32 v4, -1, v1
	v_and_b32_e32 v1, 0x3c0, v2
	s_addc_u32 s5, s37, s5
	v_mul_u32_u24_e32 v6, 6, v1
	v_lshlrev_b32_e32 v8, 3, v4
	v_mov_b32_e32 v9, v5
	v_lshl_add_u64 v[8:9], s[4:5], 0, v[8:9]
	v_lshlrev_b32_e32 v10, 3, v6
	v_mov_b32_e32 v11, v5
	v_lshl_add_u64 v[18:19], v[8:9], 0, v[10:11]
	global_load_dwordx2 v[8:9], v[18:19], off
	s_load_dword s4, s[0:1], 0x5c
	s_load_dword s3, s[0:1], 0x50
	s_add_u32 s0, s0, 0x50
	s_addc_u32 s1, s1, 0
	v_bfe_u32 v20, v0, 10, 10
	s_waitcnt lgkmcnt(0)
	s_lshr_b32 s4, s4, 16
	s_cmp_lt_u32 s2, s3
	s_cselect_b32 s5, 12, 18
	s_add_u32 s0, s0, s5
	s_addc_u32 s1, s1, 0
	global_load_ushort v7, v5, s[0:1]
	v_bfe_u32 v23, v0, 20, 10
	v_mul_u32_u24_e32 v0, 5, v2
	v_lshlrev_b32_e32 v3, 2, v0
	ds_write2_b32 v3, v5, v5 offset0:16 offset1:17
	ds_write2_b32 v3, v5, v5 offset0:18 offset1:19
	ds_write_b32 v3, v5 offset:80
	global_load_dwordx2 v[16:17], v[18:19], off offset:512
	global_load_dwordx2 v[14:15], v[18:19], off offset:1024
	;; [unrolled: 1-line block ×5, first 2 shown]
	s_lshl_b32 s0, -1, s45
	s_not_b32 s14, s0
	v_mov_b32_e32 v21, v5
	v_mad_u32_u24 v30, v23, s4, v20
	v_mov_b32_e32 v22, v5
	v_mov_b32_e32 v24, v5
	;; [unrolled: 1-line block ×4, first 2 shown]
	s_waitcnt lgkmcnt(0)
	s_barrier
	s_waitcnt lgkmcnt(0)
	; wave barrier
	s_waitcnt vmcnt(6)
	v_xor_b32_e32 v9, 0x80000000, v9
	v_lshrrev_b64 v[18:19], s44, v[8:9]
	v_and_b32_e32 v34, s14, v18
	v_and_b32_e32 v20, 1, v34
	v_lshlrev_b32_e32 v23, 30, v34
	v_lshlrev_b32_e32 v25, 29, v34
	;; [unrolled: 1-line block ×3, first 2 shown]
	v_lshl_add_u64 v[32:33], v[20:21], 0, -1
	v_cmp_ne_u32_e32 vcc, 0, v20
	v_lshl_add_u32 v18, v34, 4, v34
	s_waitcnt vmcnt(5)
	v_mad_u64_u32 v[30:31], s[0:1], v30, v7, v[2:3]
	v_not_b32_e32 v7, v23
	v_lshlrev_b32_e32 v27, 28, v34
	v_cmp_gt_i64_e64 s[0:1], 0, v[22:23]
	v_cmp_gt_i64_e64 s[4:5], 0, v[24:25]
	v_not_b32_e32 v20, v25
	v_cmp_gt_i64_e64 s[8:9], 0, v[28:29]
	v_lshrrev_b32_e32 v28, 6, v30
	v_xor_b32_e32 v23, vcc_hi, v33
	v_xor_b32_e32 v24, vcc_lo, v32
	v_ashrrev_i32_e32 v25, 31, v7
	v_not_b32_e32 v21, v27
	v_ashrrev_i32_e32 v20, 31, v20
	v_add_lshl_u32 v7, v28, v18, 2
	v_and_b32_e32 v18, exec_hi, v23
	v_and_b32_e32 v23, exec_lo, v24
	v_xor_b32_e32 v24, s1, v25
	v_cmp_gt_i64_e64 s[6:7], 0, v[26:27]
	v_not_b32_e32 v22, v29
	v_ashrrev_i32_e32 v21, 31, v21
	v_xor_b32_e32 v25, s0, v25
	v_xor_b32_e32 v26, s5, v20
	v_and_b32_e32 v18, v18, v24
	v_ashrrev_i32_e32 v22, 31, v22
	v_xor_b32_e32 v20, s4, v20
	v_xor_b32_e32 v27, s7, v21
	v_and_b32_e32 v23, v23, v25
	v_and_b32_e32 v18, v18, v26
	v_xor_b32_e32 v21, s6, v21
	v_xor_b32_e32 v29, s9, v22
	v_and_b32_e32 v20, v23, v20
	v_and_b32_e32 v18, v18, v27
	v_lshlrev_b32_e32 v19, 26, v34
	v_and_b32_e32 v20, v20, v21
	v_and_b32_e32 v21, v18, v29
	v_mov_b32_e32 v18, v5
	v_cmp_gt_i64_e32 vcc, 0, v[18:19]
	v_not_b32_e32 v18, v19
	v_xor_b32_e32 v22, s8, v22
	v_ashrrev_i32_e32 v18, 31, v18
	v_and_b32_e32 v20, v20, v22
	v_xor_b32_e32 v19, vcc_hi, v18
	v_xor_b32_e32 v18, vcc_lo, v18
	v_and_b32_e32 v21, v21, v19
	v_and_b32_e32 v20, v20, v18
	v_lshlrev_b32_e32 v19, 25, v34
	v_mov_b32_e32 v18, v5
	v_cmp_gt_i64_e32 vcc, 0, v[18:19]
	v_not_b32_e32 v18, v19
	v_ashrrev_i32_e32 v18, 31, v18
	v_xor_b32_e32 v19, vcc_hi, v18
	v_xor_b32_e32 v18, vcc_lo, v18
	v_and_b32_e32 v21, v21, v19
	v_and_b32_e32 v20, v20, v18
	v_lshlrev_b32_e32 v19, 24, v34
	v_mov_b32_e32 v18, v5
	v_cmp_gt_i64_e32 vcc, 0, v[18:19]
	v_not_b32_e32 v18, v19
	v_ashrrev_i32_e32 v18, 31, v18
	v_xor_b32_e32 v19, vcc_hi, v18
	v_xor_b32_e32 v18, vcc_lo, v18
	v_and_b32_e32 v18, v20, v18
	v_and_b32_e32 v19, v21, v19
	v_mbcnt_lo_u32_b32 v20, v18, 0
	v_mbcnt_hi_u32_b32 v22, v19, v20
	v_cmp_eq_u32_e32 vcc, 0, v22
	v_cmp_ne_u64_e64 s[0:1], 0, v[18:19]
	s_and_b64 s[4:5], s[0:1], vcc
	s_and_saveexec_b64 s[0:1], s[4:5]
	s_cbranch_execz .LBB24_89
; %bb.88:
	v_bcnt_u32_b32 v18, v18, 0
	v_bcnt_u32_b32 v18, v19, v18
	ds_write_b32 v7, v18 offset:64
.LBB24_89:
	s_or_b64 exec, exec, s[0:1]
	s_waitcnt vmcnt(4)
	v_xor_b32_e32 v17, 0x80000000, v17
	v_lshrrev_b64 v[18:19], s44, v[16:17]
	v_and_b32_e32 v25, s14, v18
	v_lshl_add_u32 v18, v25, 4, v25
	v_add_lshl_u32 v24, v28, v18, 2
	v_and_b32_e32 v18, 1, v25
	v_mov_b32_e32 v19, v5
	v_lshl_add_u64 v[20:21], v[18:19], 0, -1
	v_cmp_ne_u32_e32 vcc, 0, v18
	; wave barrier
	s_nop 1
	v_xor_b32_e32 v18, vcc_hi, v21
	v_xor_b32_e32 v19, vcc_lo, v20
	v_and_b32_e32 v20, exec_hi, v18
	v_and_b32_e32 v21, exec_lo, v19
	v_lshlrev_b32_e32 v19, 30, v25
	v_mov_b32_e32 v18, v5
	v_cmp_gt_i64_e32 vcc, 0, v[18:19]
	v_not_b32_e32 v18, v19
	v_ashrrev_i32_e32 v18, 31, v18
	v_xor_b32_e32 v19, vcc_hi, v18
	v_xor_b32_e32 v18, vcc_lo, v18
	v_and_b32_e32 v20, v20, v19
	v_and_b32_e32 v21, v21, v18
	v_lshlrev_b32_e32 v19, 29, v25
	v_mov_b32_e32 v18, v5
	v_cmp_gt_i64_e32 vcc, 0, v[18:19]
	v_not_b32_e32 v18, v19
	v_ashrrev_i32_e32 v18, 31, v18
	v_xor_b32_e32 v19, vcc_hi, v18
	v_xor_b32_e32 v18, vcc_lo, v18
	v_and_b32_e32 v20, v20, v19
	v_and_b32_e32 v21, v21, v18
	;; [unrolled: 9-line block ×6, first 2 shown]
	v_lshlrev_b32_e32 v19, 24, v25
	v_mov_b32_e32 v18, v5
	v_cmp_gt_i64_e32 vcc, 0, v[18:19]
	v_not_b32_e32 v18, v19
	v_ashrrev_i32_e32 v18, 31, v18
	v_xor_b32_e32 v19, vcc_hi, v18
	v_xor_b32_e32 v18, vcc_lo, v18
	ds_read_b32 v23, v24 offset:64
	v_and_b32_e32 v18, v21, v18
	v_and_b32_e32 v19, v20, v19
	v_mbcnt_lo_u32_b32 v20, v18, 0
	v_mbcnt_hi_u32_b32 v25, v19, v20
	v_cmp_eq_u32_e32 vcc, 0, v25
	v_cmp_ne_u64_e64 s[0:1], 0, v[18:19]
	s_and_b64 s[4:5], s[0:1], vcc
	; wave barrier
	s_and_saveexec_b64 s[0:1], s[4:5]
	s_cbranch_execz .LBB24_91
; %bb.90:
	v_bcnt_u32_b32 v18, v18, 0
	v_bcnt_u32_b32 v18, v19, v18
	s_waitcnt lgkmcnt(0)
	v_add_u32_e32 v18, v23, v18
	ds_write_b32 v24, v18 offset:64
.LBB24_91:
	s_or_b64 exec, exec, s[0:1]
	s_waitcnt vmcnt(3)
	v_xor_b32_e32 v15, 0x80000000, v15
	v_lshrrev_b64 v[18:19], s44, v[14:15]
	v_and_b32_e32 v29, s14, v18
	v_lshl_add_u32 v18, v29, 4, v29
	v_add_lshl_u32 v27, v28, v18, 2
	v_and_b32_e32 v18, 1, v29
	v_mov_b32_e32 v19, 0
	v_lshl_add_u64 v[20:21], v[18:19], 0, -1
	v_cmp_ne_u32_e32 vcc, 0, v18
	; wave barrier
	s_nop 1
	v_xor_b32_e32 v20, vcc_lo, v20
	v_xor_b32_e32 v18, vcc_hi, v21
	v_and_b32_e32 v30, exec_lo, v20
	v_lshlrev_b32_e32 v21, 30, v29
	v_mov_b32_e32 v20, v19
	v_cmp_gt_i64_e32 vcc, 0, v[20:21]
	v_not_b32_e32 v20, v21
	v_ashrrev_i32_e32 v20, 31, v20
	v_and_b32_e32 v18, exec_hi, v18
	v_xor_b32_e32 v21, vcc_hi, v20
	v_xor_b32_e32 v20, vcc_lo, v20
	v_and_b32_e32 v18, v18, v21
	v_and_b32_e32 v30, v30, v20
	v_lshlrev_b32_e32 v21, 29, v29
	v_mov_b32_e32 v20, v19
	v_cmp_gt_i64_e32 vcc, 0, v[20:21]
	v_not_b32_e32 v20, v21
	v_ashrrev_i32_e32 v20, 31, v20
	v_xor_b32_e32 v21, vcc_hi, v20
	v_xor_b32_e32 v20, vcc_lo, v20
	v_and_b32_e32 v18, v18, v21
	v_and_b32_e32 v30, v30, v20
	v_lshlrev_b32_e32 v21, 28, v29
	v_mov_b32_e32 v20, v19
	v_cmp_gt_i64_e32 vcc, 0, v[20:21]
	v_not_b32_e32 v20, v21
	v_ashrrev_i32_e32 v20, 31, v20
	;; [unrolled: 9-line block ×6, first 2 shown]
	v_xor_b32_e32 v21, vcc_hi, v20
	v_xor_b32_e32 v20, vcc_lo, v20
	ds_read_b32 v26, v27 offset:64
	v_and_b32_e32 v20, v30, v20
	v_and_b32_e32 v21, v18, v21
	v_mbcnt_lo_u32_b32 v18, v20, 0
	v_mbcnt_hi_u32_b32 v29, v21, v18
	v_cmp_eq_u32_e32 vcc, 0, v29
	v_cmp_ne_u64_e64 s[0:1], 0, v[20:21]
	s_and_b64 s[4:5], s[0:1], vcc
	; wave barrier
	s_and_saveexec_b64 s[0:1], s[4:5]
	s_cbranch_execz .LBB24_93
; %bb.92:
	v_bcnt_u32_b32 v18, v20, 0
	v_bcnt_u32_b32 v18, v21, v18
	s_waitcnt lgkmcnt(0)
	v_add_u32_e32 v18, v26, v18
	ds_write_b32 v27, v18 offset:64
.LBB24_93:
	s_or_b64 exec, exec, s[0:1]
	s_waitcnt vmcnt(2)
	v_xor_b32_e32 v13, 0x80000000, v13
	v_lshrrev_b64 v[20:21], s44, v[12:13]
	v_and_b32_e32 v32, s14, v20
	v_lshl_add_u32 v18, v32, 4, v32
	v_add_lshl_u32 v31, v28, v18, 2
	v_and_b32_e32 v18, 1, v32
	v_lshl_add_u64 v[20:21], v[18:19], 0, -1
	v_cmp_ne_u32_e32 vcc, 0, v18
	; wave barrier
	s_nop 1
	v_xor_b32_e32 v20, vcc_lo, v20
	v_xor_b32_e32 v18, vcc_hi, v21
	v_and_b32_e32 v33, exec_lo, v20
	v_lshlrev_b32_e32 v21, 30, v32
	v_mov_b32_e32 v20, v19
	v_cmp_gt_i64_e32 vcc, 0, v[20:21]
	v_not_b32_e32 v20, v21
	v_ashrrev_i32_e32 v20, 31, v20
	v_and_b32_e32 v18, exec_hi, v18
	v_xor_b32_e32 v21, vcc_hi, v20
	v_xor_b32_e32 v20, vcc_lo, v20
	v_and_b32_e32 v18, v18, v21
	v_and_b32_e32 v33, v33, v20
	v_lshlrev_b32_e32 v21, 29, v32
	v_mov_b32_e32 v20, v19
	v_cmp_gt_i64_e32 vcc, 0, v[20:21]
	v_not_b32_e32 v20, v21
	v_ashrrev_i32_e32 v20, 31, v20
	v_xor_b32_e32 v21, vcc_hi, v20
	v_xor_b32_e32 v20, vcc_lo, v20
	v_and_b32_e32 v18, v18, v21
	v_and_b32_e32 v33, v33, v20
	v_lshlrev_b32_e32 v21, 28, v32
	v_mov_b32_e32 v20, v19
	v_cmp_gt_i64_e32 vcc, 0, v[20:21]
	v_not_b32_e32 v20, v21
	v_ashrrev_i32_e32 v20, 31, v20
	;; [unrolled: 9-line block ×5, first 2 shown]
	v_xor_b32_e32 v21, vcc_hi, v20
	v_xor_b32_e32 v20, vcc_lo, v20
	v_and_b32_e32 v18, v18, v21
	v_lshlrev_b32_e32 v21, 24, v32
	v_and_b32_e32 v33, v33, v20
	v_mov_b32_e32 v20, v19
	v_not_b32_e32 v19, v21
	v_cmp_gt_i64_e32 vcc, 0, v[20:21]
	v_ashrrev_i32_e32 v19, 31, v19
	ds_read_b32 v30, v31 offset:64
	v_xor_b32_e32 v20, vcc_hi, v19
	v_xor_b32_e32 v21, vcc_lo, v19
	v_and_b32_e32 v19, v18, v20
	v_and_b32_e32 v18, v33, v21
	v_mbcnt_lo_u32_b32 v20, v18, 0
	v_mbcnt_hi_u32_b32 v32, v19, v20
	v_cmp_eq_u32_e32 vcc, 0, v32
	v_cmp_ne_u64_e64 s[0:1], 0, v[18:19]
	s_and_b64 s[4:5], s[0:1], vcc
	; wave barrier
	s_and_saveexec_b64 s[0:1], s[4:5]
	s_cbranch_execz .LBB24_95
; %bb.94:
	v_bcnt_u32_b32 v18, v18, 0
	v_bcnt_u32_b32 v18, v19, v18
	s_waitcnt lgkmcnt(0)
	v_add_u32_e32 v18, v30, v18
	ds_write_b32 v31, v18 offset:64
.LBB24_95:
	s_or_b64 exec, exec, s[0:1]
	s_waitcnt vmcnt(1)
	v_xor_b32_e32 v11, 0x80000000, v11
	v_lshrrev_b64 v[18:19], s44, v[10:11]
	v_and_b32_e32 v35, s14, v18
	v_lshl_add_u32 v18, v35, 4, v35
	v_add_lshl_u32 v34, v28, v18, 2
	v_and_b32_e32 v18, 1, v35
	v_mov_b32_e32 v19, 0
	v_lshl_add_u64 v[20:21], v[18:19], 0, -1
	v_cmp_ne_u32_e32 vcc, 0, v18
	; wave barrier
	s_nop 1
	v_xor_b32_e32 v20, vcc_lo, v20
	v_xor_b32_e32 v18, vcc_hi, v21
	v_and_b32_e32 v36, exec_lo, v20
	v_lshlrev_b32_e32 v21, 30, v35
	v_mov_b32_e32 v20, v19
	v_cmp_gt_i64_e32 vcc, 0, v[20:21]
	v_not_b32_e32 v20, v21
	v_ashrrev_i32_e32 v20, 31, v20
	v_and_b32_e32 v18, exec_hi, v18
	v_xor_b32_e32 v21, vcc_hi, v20
	v_xor_b32_e32 v20, vcc_lo, v20
	v_and_b32_e32 v18, v18, v21
	v_and_b32_e32 v36, v36, v20
	v_lshlrev_b32_e32 v21, 29, v35
	v_mov_b32_e32 v20, v19
	v_cmp_gt_i64_e32 vcc, 0, v[20:21]
	v_not_b32_e32 v20, v21
	v_ashrrev_i32_e32 v20, 31, v20
	v_xor_b32_e32 v21, vcc_hi, v20
	v_xor_b32_e32 v20, vcc_lo, v20
	v_and_b32_e32 v18, v18, v21
	v_and_b32_e32 v36, v36, v20
	v_lshlrev_b32_e32 v21, 28, v35
	v_mov_b32_e32 v20, v19
	v_cmp_gt_i64_e32 vcc, 0, v[20:21]
	v_not_b32_e32 v20, v21
	v_ashrrev_i32_e32 v20, 31, v20
	;; [unrolled: 9-line block ×6, first 2 shown]
	v_xor_b32_e32 v21, vcc_hi, v20
	v_xor_b32_e32 v20, vcc_lo, v20
	ds_read_b32 v33, v34 offset:64
	v_and_b32_e32 v20, v36, v20
	v_and_b32_e32 v21, v18, v21
	v_mbcnt_lo_u32_b32 v18, v20, 0
	v_mbcnt_hi_u32_b32 v35, v21, v18
	v_cmp_eq_u32_e32 vcc, 0, v35
	v_cmp_ne_u64_e64 s[0:1], 0, v[20:21]
	s_and_b64 s[4:5], s[0:1], vcc
	; wave barrier
	s_and_saveexec_b64 s[0:1], s[4:5]
	s_cbranch_execz .LBB24_97
; %bb.96:
	v_bcnt_u32_b32 v18, v20, 0
	v_bcnt_u32_b32 v18, v21, v18
	s_waitcnt lgkmcnt(0)
	v_add_u32_e32 v18, v33, v18
	ds_write_b32 v34, v18 offset:64
.LBB24_97:
	s_or_b64 exec, exec, s[0:1]
	s_waitcnt vmcnt(0)
	v_xor_b32_e32 v1, 0x80000000, v1
	v_lshrrev_b64 v[20:21], s44, v[0:1]
	v_and_b32_e32 v38, s14, v20
	v_lshl_add_u32 v18, v38, 4, v38
	v_add_lshl_u32 v37, v28, v18, 2
	v_and_b32_e32 v18, 1, v38
	v_lshl_add_u64 v[20:21], v[18:19], 0, -1
	v_cmp_ne_u32_e32 vcc, 0, v18
	; wave barrier
	s_nop 1
	v_xor_b32_e32 v20, vcc_lo, v20
	v_xor_b32_e32 v18, vcc_hi, v21
	v_and_b32_e32 v39, exec_lo, v20
	v_lshlrev_b32_e32 v21, 30, v38
	v_mov_b32_e32 v20, v19
	v_cmp_gt_i64_e32 vcc, 0, v[20:21]
	v_not_b32_e32 v20, v21
	v_ashrrev_i32_e32 v20, 31, v20
	v_and_b32_e32 v18, exec_hi, v18
	v_xor_b32_e32 v21, vcc_hi, v20
	v_xor_b32_e32 v20, vcc_lo, v20
	v_and_b32_e32 v18, v18, v21
	v_and_b32_e32 v39, v39, v20
	v_lshlrev_b32_e32 v21, 29, v38
	v_mov_b32_e32 v20, v19
	v_cmp_gt_i64_e32 vcc, 0, v[20:21]
	v_not_b32_e32 v20, v21
	v_ashrrev_i32_e32 v20, 31, v20
	v_xor_b32_e32 v21, vcc_hi, v20
	v_xor_b32_e32 v20, vcc_lo, v20
	v_and_b32_e32 v18, v18, v21
	v_and_b32_e32 v39, v39, v20
	v_lshlrev_b32_e32 v21, 28, v38
	v_mov_b32_e32 v20, v19
	v_cmp_gt_i64_e32 vcc, 0, v[20:21]
	v_not_b32_e32 v20, v21
	v_ashrrev_i32_e32 v20, 31, v20
	;; [unrolled: 9-line block ×5, first 2 shown]
	v_xor_b32_e32 v21, vcc_hi, v20
	v_xor_b32_e32 v20, vcc_lo, v20
	v_and_b32_e32 v18, v18, v21
	v_lshlrev_b32_e32 v21, 24, v38
	v_and_b32_e32 v39, v39, v20
	v_mov_b32_e32 v20, v19
	v_not_b32_e32 v19, v21
	v_cmp_gt_i64_e32 vcc, 0, v[20:21]
	v_ashrrev_i32_e32 v19, 31, v19
	ds_read_b32 v28, v37 offset:64
	v_xor_b32_e32 v20, vcc_hi, v19
	v_xor_b32_e32 v21, vcc_lo, v19
	v_and_b32_e32 v19, v18, v20
	v_and_b32_e32 v18, v39, v21
	v_mbcnt_lo_u32_b32 v20, v18, 0
	v_mbcnt_hi_u32_b32 v38, v19, v20
	v_cmp_eq_u32_e32 vcc, 0, v38
	v_cmp_ne_u64_e64 s[0:1], 0, v[18:19]
	v_add_u32_e32 v36, 64, v3
	s_and_b64 s[4:5], s[0:1], vcc
	; wave barrier
	s_and_saveexec_b64 s[0:1], s[4:5]
	s_cbranch_execz .LBB24_99
; %bb.98:
	v_bcnt_u32_b32 v18, v18, 0
	v_bcnt_u32_b32 v18, v19, v18
	s_waitcnt lgkmcnt(0)
	v_add_u32_e32 v18, v28, v18
	ds_write_b32 v37, v18 offset:64
.LBB24_99:
	s_or_b64 exec, exec, s[0:1]
	; wave barrier
	s_waitcnt lgkmcnt(0)
	s_barrier
	ds_read2_b32 v[20:21], v3 offset0:16 offset1:17
	ds_read2_b32 v[18:19], v36 offset0:2 offset1:3
	ds_read_b32 v39, v36 offset:16
	v_cmp_lt_u32_e64 s[8:9], 31, v4
	s_waitcnt lgkmcnt(1)
	v_add3_u32 v40, v21, v20, v18
	s_waitcnt lgkmcnt(0)
	v_add3_u32 v39, v40, v19, v39
	v_and_b32_e32 v40, 15, v4
	v_cmp_eq_u32_e32 vcc, 0, v40
	v_mov_b32_dpp v41, v39 row_shr:1 row_mask:0xf bank_mask:0xf
	v_cmp_lt_u32_e64 s[0:1], 1, v40
	v_cndmask_b32_e64 v41, v41, 0, vcc
	v_add_u32_e32 v39, v41, v39
	v_cmp_lt_u32_e64 s[6:7], 3, v40
	v_cmp_lt_u32_e64 s[4:5], 7, v40
	v_mov_b32_dpp v41, v39 row_shr:2 row_mask:0xf bank_mask:0xf
	v_cndmask_b32_e64 v41, 0, v41, s[0:1]
	v_add_u32_e32 v39, v39, v41
	s_nop 1
	v_mov_b32_dpp v41, v39 row_shr:4 row_mask:0xf bank_mask:0xf
	v_cndmask_b32_e64 v41, 0, v41, s[6:7]
	v_add_u32_e32 v39, v39, v41
	s_nop 1
	v_mov_b32_dpp v41, v39 row_shr:8 row_mask:0xf bank_mask:0xf
	v_cndmask_b32_e64 v40, 0, v41, s[4:5]
	v_add_u32_e32 v39, v39, v40
	v_bfe_i32 v41, v4, 4, 1
	s_nop 0
	v_mov_b32_dpp v40, v39 row_bcast:15 row_mask:0xf bank_mask:0xf
	v_and_b32_e32 v40, v41, v40
	v_add_u32_e32 v39, v39, v40
	v_and_b32_e32 v41, 63, v2
	s_nop 0
	v_mov_b32_dpp v40, v39 row_bcast:31 row_mask:0xf bank_mask:0xf
	v_cndmask_b32_e64 v40, 0, v40, s[8:9]
	v_add_u32_e32 v39, v39, v40
	v_lshrrev_b32_e32 v40, 6, v2
	v_cmp_eq_u32_e64 s[8:9], 63, v41
	s_and_saveexec_b64 s[12:13], s[8:9]
	s_cbranch_execz .LBB24_101
; %bb.100:
	v_lshlrev_b32_e32 v41, 2, v40
	ds_write_b32 v41, v39
.LBB24_101:
	s_or_b64 exec, exec, s[12:13]
	v_cmp_gt_u32_e64 s[8:9], 16, v2
	s_waitcnt lgkmcnt(0)
	s_barrier
	s_and_saveexec_b64 s[12:13], s[8:9]
	s_cbranch_execz .LBB24_103
; %bb.102:
	v_lshlrev_b32_e32 v41, 2, v2
	ds_read_b32 v42, v41
	s_waitcnt lgkmcnt(0)
	s_nop 0
	v_mov_b32_dpp v43, v42 row_shr:1 row_mask:0xf bank_mask:0xf
	v_cndmask_b32_e64 v43, v43, 0, vcc
	v_add_u32_e32 v42, v43, v42
	s_nop 1
	v_mov_b32_dpp v43, v42 row_shr:2 row_mask:0xf bank_mask:0xf
	v_cndmask_b32_e64 v43, 0, v43, s[0:1]
	v_add_u32_e32 v42, v42, v43
	s_nop 1
	v_mov_b32_dpp v43, v42 row_shr:4 row_mask:0xf bank_mask:0xf
	v_cndmask_b32_e64 v43, 0, v43, s[6:7]
	;; [unrolled: 4-line block ×3, first 2 shown]
	v_add_u32_e32 v42, v42, v43
	ds_write_b32 v41, v42
.LBB24_103:
	s_or_b64 exec, exec, s[12:13]
	v_cmp_lt_u32_e32 vcc, 63, v2
	v_mov_b32_e32 v41, 0
	s_waitcnt lgkmcnt(0)
	s_barrier
	s_and_saveexec_b64 s[0:1], vcc
	s_cbranch_execz .LBB24_105
; %bb.104:
	v_lshl_add_u32 v40, v40, 2, -4
	ds_read_b32 v41, v40
.LBB24_105:
	s_or_b64 exec, exec, s[0:1]
	v_add_u32_e32 v40, -1, v4
	v_and_b32_e32 v42, 64, v4
	v_cmp_lt_i32_e32 vcc, v40, v42
	s_waitcnt lgkmcnt(0)
	v_add_u32_e32 v39, v41, v39
	s_movk_i32 s4, 0xff
	v_cndmask_b32_e32 v40, v40, v4, vcc
	v_lshlrev_b32_e32 v40, 2, v40
	ds_bpermute_b32 v39, v40, v39
	v_cmp_eq_u32_e32 vcc, 0, v4
	s_movk_i32 s5, 0x100
	v_cmp_lt_u32_e64 s[0:1], s4, v2
	s_waitcnt lgkmcnt(0)
	v_cndmask_b32_e32 v39, v39, v41, vcc
	v_cmp_ne_u32_e32 vcc, 0, v2
	s_nop 1
	v_cndmask_b32_e32 v39, 0, v39, vcc
	v_add_u32_e32 v20, v39, v20
	v_add_u32_e32 v21, v20, v21
	;; [unrolled: 1-line block ×4, first 2 shown]
	ds_write2_b32 v3, v39, v20 offset0:16 offset1:17
	ds_write2_b32 v36, v21, v18 offset0:2 offset1:3
	ds_write_b32 v36, v19 offset:16
	s_waitcnt lgkmcnt(0)
	s_barrier
	ds_read_b32 v3, v7 offset:64
	ds_read_b32 v24, v24 offset:64
	ds_read_b32 v27, v27 offset:64
	ds_read_b32 v31, v31 offset:64
	ds_read_b32 v34, v34 offset:64
	ds_read_b32 v36, v37 offset:64
	v_cmp_gt_u32_e32 vcc, s5, v2
	v_mov_b64_e32 v[18:19], 0
                                        ; implicit-def: $vgpr20
	s_and_saveexec_b64 s[6:7], vcc
	s_cbranch_execz .LBB24_109
; %bb.106:
	v_mul_u32_u24_e32 v7, 17, v2
	v_lshlrev_b32_e32 v19, 2, v7
	ds_read_b32 v18, v19 offset:64
	v_cmp_ne_u32_e64 s[4:5], s4, v2
	v_mov_b32_e32 v7, 0x1800
	s_and_saveexec_b64 s[8:9], s[4:5]
	s_cbranch_execz .LBB24_108
; %bb.107:
	ds_read_b32 v7, v19 offset:132
.LBB24_108:
	s_or_b64 exec, exec, s[8:9]
	s_waitcnt lgkmcnt(0)
	v_sub_u32_e32 v20, v7, v18
	v_mov_b32_e32 v19, 0
.LBB24_109:
	s_or_b64 exec, exec, s[6:7]
	s_waitcnt lgkmcnt(5)
	v_add_u32_e32 v21, v3, v22
	s_waitcnt lgkmcnt(4)
	v_add3_u32 v22, v25, v23, v24
	v_lshlrev_b32_e32 v3, 3, v21
	s_waitcnt lgkmcnt(3)
	v_add3_u32 v23, v29, v26, v27
	s_waitcnt lgkmcnt(0)
	s_barrier
	ds_write_b64 v3, v[8:9] offset:2048
	v_lshlrev_b32_e32 v3, 3, v22
	v_add3_u32 v24, v32, v30, v31
	ds_write_b64 v3, v[16:17] offset:2048
	v_lshlrev_b32_e32 v3, 3, v23
	v_add3_u32 v25, v35, v33, v34
	;; [unrolled: 3-line block ×3, first 2 shown]
	ds_write_b64 v3, v[12:13] offset:2048
	v_lshlrev_b32_e32 v3, 3, v25
	v_mov_b32_e32 v7, v5
	ds_write_b64 v3, v[10:11] offset:2048
	v_lshlrev_b32_e32 v3, 3, v26
	ds_write_b64 v3, v[0:1] offset:2048
	s_waitcnt lgkmcnt(0)
	s_barrier
	s_and_saveexec_b64 s[4:5], s[0:1]
	s_xor_b64 s[0:1], exec, s[4:5]
; %bb.110:
	v_mov_b32_e32 v3, 0
; %bb.111:
	s_andn2_saveexec_b64 s[4:5], s[0:1]
	s_cbranch_execz .LBB24_121
; %bb.112:
	v_lshl_or_b32 v8, s2, 8, v2
	v_mov_b32_e32 v9, 0
	v_lshl_add_u64 v[0:1], v[8:9], 2, s[48:49]
	v_or_b32_e32 v3, 2.0, v20
	s_mov_b64 s[6:7], 0
	s_brev_b32 s15, 1
	s_mov_b32 s16, s2
	v_mov_b32_e32 v12, 0
	global_store_dword v[0:1], v3, off sc1
                                        ; implicit-def: $sgpr0_sgpr1
	s_branch .LBB24_115
.LBB24_113:                             ;   in Loop: Header=BB24_115 Depth=1
	s_or_b64 exec, exec, s[12:13]
.LBB24_114:                             ;   in Loop: Header=BB24_115 Depth=1
	s_or_b64 exec, exec, s[8:9]
	v_and_b32_e32 v8, 0x3fffffff, v8
	v_add_u32_e32 v12, v8, v12
	v_cmp_eq_u32_e64 s[0:1], s15, v3
	s_and_b64 s[8:9], exec, s[0:1]
	s_or_b64 s[6:7], s[8:9], s[6:7]
	s_andn2_b64 exec, exec, s[6:7]
	s_cbranch_execz .LBB24_120
.LBB24_115:                             ; =>This Loop Header: Depth=1
                                        ;     Child Loop BB24_118 Depth 2
	s_or_b64 s[0:1], s[0:1], exec
	s_cmp_eq_u32 s16, 0
	s_cbranch_scc1 .LBB24_119
; %bb.116:                              ;   in Loop: Header=BB24_115 Depth=1
	s_add_i32 s16, s16, -1
	v_lshl_or_b32 v8, s16, 8, v2
	v_lshl_add_u64 v[10:11], v[8:9], 2, s[48:49]
	global_load_dword v8, v[10:11], off sc1
	s_waitcnt vmcnt(0)
	v_and_b32_e32 v3, -2.0, v8
	v_cmp_eq_u32_e64 s[0:1], 0, v3
	s_and_saveexec_b64 s[8:9], s[0:1]
	s_cbranch_execz .LBB24_114
; %bb.117:                              ;   in Loop: Header=BB24_115 Depth=1
	s_mov_b64 s[12:13], 0
.LBB24_118:                             ;   Parent Loop BB24_115 Depth=1
                                        ; =>  This Inner Loop Header: Depth=2
	global_load_dword v8, v[10:11], off sc1
	s_waitcnt vmcnt(0)
	v_and_b32_e32 v3, -2.0, v8
	v_cmp_ne_u32_e64 s[0:1], 0, v3
	s_or_b64 s[12:13], s[0:1], s[12:13]
	s_andn2_b64 exec, exec, s[12:13]
	s_cbranch_execnz .LBB24_118
	s_branch .LBB24_113
.LBB24_119:                             ;   in Loop: Header=BB24_115 Depth=1
                                        ; implicit-def: $sgpr16
	s_and_b64 s[8:9], exec, s[0:1]
	s_or_b64 s[6:7], s[8:9], s[6:7]
	s_andn2_b64 exec, exec, s[6:7]
	s_cbranch_execnz .LBB24_115
.LBB24_120:
	s_or_b64 exec, exec, s[6:7]
	v_add_u32_e32 v3, v12, v20
	v_or_b32_e32 v3, 0x80000000, v3
	global_store_dword v[0:1], v3, off sc1
	v_lshlrev_b32_e32 v10, 3, v2
	global_load_dwordx2 v[0:1], v10, s[28:29]
	v_sub_co_u32_e64 v8, s[0:1], v12, v18
	v_mov_b32_e32 v3, 0
	s_nop 0
	v_subb_co_u32_e64 v9, s[0:1], 0, v19, s[0:1]
	s_waitcnt vmcnt(0)
	v_lshl_add_u64 v[0:1], v[8:9], 0, v[0:1]
	ds_write_b64 v10, v[0:1]
.LBB24_121:
	s_or_b64 exec, exec, s[4:5]
	v_lshlrev_b32_e32 v27, 3, v2
	s_waitcnt lgkmcnt(0)
	s_barrier
	ds_read2st64_b64 v[8:11], v27 offset0:20 offset1:36
	v_lshlrev_b32_e32 v0, 3, v2
	ds_read2st64_b64 v[12:15], v27 offset0:52 offset1:68
	ds_read_b64 v[0:1], v0 offset:2048
	s_add_u32 s0, s40, s34
	s_addc_u32 s1, s41, 0
	s_waitcnt lgkmcnt(2)
	v_lshrrev_b64 v[16:17], s44, v[10:11]
	v_and_b32_e32 v16, s14, v16
	v_lshlrev_b32_e32 v40, 3, v16
	s_waitcnt lgkmcnt(1)
	v_lshrrev_b64 v[16:17], s44, v[14:15]
	v_and_b32_e32 v16, s14, v16
	v_lshlrev_b32_e32 v41, 3, v16
	s_waitcnt lgkmcnt(0)
	v_lshrrev_b64 v[32:33], s44, v[0:1]
	ds_read_b64 v[16:17], v41
	ds_read_b64 v[28:29], v40
	ds_read_b64 v[30:31], v27 offset:43008
	v_and_b32_e32 v32, s14, v32
	v_lshlrev_b32_e32 v42, 3, v32
	v_lshrrev_b64 v[32:33], s44, v[8:9]
	v_and_b32_e32 v32, s14, v32
	v_lshlrev_b32_e32 v43, 3, v32
	v_lshrrev_b64 v[32:33], s44, v[12:13]
	v_and_b32_e32 v32, s14, v32
	v_lshlrev_b32_e32 v44, 3, v32
	s_waitcnt lgkmcnt(0)
	v_lshrrev_b64 v[32:33], s44, v[30:31]
	v_and_b32_e32 v34, s14, v32
	ds_read_b64 v[32:33], v42
	v_lshlrev_b32_e32 v45, 3, v34
	ds_read_b64 v[34:35], v43
	ds_read_b64 v[36:37], v44
	ds_read_b64 v[38:39], v45
	v_xor_b32_e32 v1, 0x80000000, v1
	v_xor_b32_e32 v9, 0x80000000, v9
	s_waitcnt lgkmcnt(3)
	v_lshl_add_u64 v[32:33], v[32:33], 3, s[38:39]
	v_lshl_add_u64 v[32:33], v[2:3], 3, v[32:33]
	global_store_dwordx2 v[32:33], v[0:1], off
	s_waitcnt lgkmcnt(2)
	v_lshl_add_u64 v[32:33], v[34:35], 3, s[38:39]
	v_or_b32_e32 v0, 0x2000, v27
	v_mov_b32_e32 v1, 0
	v_lshl_add_u64 v[32:33], v[32:33], 0, v[0:1]
	global_store_dwordx2 v[32:33], v[8:9], off
	v_lshl_add_u64 v[8:9], v[28:29], 3, s[38:39]
	v_or_b32_e32 v0, 0x4000, v27
	v_xor_b32_e32 v11, 0x80000000, v11
	v_lshl_add_u64 v[8:9], v[8:9], 0, v[0:1]
	global_store_dwordx2 v[8:9], v[10:11], off
	s_waitcnt lgkmcnt(1)
	v_lshl_add_u64 v[8:9], v[36:37], 3, s[38:39]
	v_or_b32_e32 v0, 0x6000, v27
	v_xor_b32_e32 v13, 0x80000000, v13
	v_lshl_add_u64 v[8:9], v[8:9], 0, v[0:1]
	v_or_b32_e32 v0, 0x1000, v2
	global_store_dwordx2 v[8:9], v[12:13], off
	v_lshl_add_u64 v[8:9], v[16:17], 3, s[38:39]
	v_lshlrev_b32_e32 v10, 3, v0
	v_mov_b32_e32 v11, v1
	v_xor_b32_e32 v15, 0x80000000, v15
	v_lshl_add_u64 v[8:9], v[8:9], 0, v[10:11]
	global_store_dwordx2 v[8:9], v[14:15], off
	v_or_b32_e32 v8, 0x1400, v2
	s_waitcnt lgkmcnt(0)
	v_lshl_add_u64 v[10:11], v[38:39], 3, s[38:39]
	v_lshlrev_b32_e32 v12, 3, v8
	v_mov_b32_e32 v13, v1
	v_xor_b32_e32 v31, 0x80000000, v31
	v_lshl_add_u64 v[10:11], v[10:11], 0, v[12:13]
	v_lshl_add_u64 v[4:5], s[0:1], 0, v[4:5]
	global_store_dwordx2 v[10:11], v[30:31], off
	v_lshl_add_u64 v[4:5], v[4:5], 0, v[6:7]
	global_load_ubyte v6, v[4:5], off
	global_load_ubyte v7, v[4:5], off offset:64
	global_load_ubyte v10, v[4:5], off offset:128
	;; [unrolled: 1-line block ×5, first 2 shown]
	s_barrier
	s_add_i32 s3, s3, -1
	s_cmp_eq_u32 s2, s3
	v_mov_b32_e32 v9, v1
	s_cselect_b64 s[0:1], -1, 0
	s_and_b64 s[2:3], vcc, s[0:1]
	s_waitcnt vmcnt(5)
	ds_write_b8 v21, v6 offset:2048
	s_waitcnt vmcnt(4)
	ds_write_b8 v22, v7 offset:2048
	;; [unrolled: 2-line block ×6, first 2 shown]
	s_waitcnt lgkmcnt(0)
	s_barrier
	ds_read_u8 v21, v2 offset:3072
	ds_read_b64 v[4:5], v42
	ds_read_b64 v[6:7], v43
	ds_read_b64 v[10:11], v40
	ds_read_b64 v[12:13], v44
	ds_read_b64 v[14:15], v41
	ds_read_u8 v22, v2 offset:4096
	ds_read_u8 v23, v2 offset:5120
	;; [unrolled: 1-line block ×5, first 2 shown]
	ds_read_b64 v[16:17], v45
	s_waitcnt lgkmcnt(10)
	v_lshl_add_u64 v[4:5], s[42:43], 0, v[4:5]
	s_waitcnt lgkmcnt(9)
	v_lshl_add_u64 v[6:7], s[42:43], 0, v[6:7]
	;; [unrolled: 2-line block ×4, first 2 shown]
	v_lshl_add_u64 v[4:5], v[4:5], 0, v[2:3]
	v_lshl_add_u64 v[6:7], v[6:7], 0, v[2:3]
	;; [unrolled: 1-line block ×4, first 2 shown]
	s_waitcnt lgkmcnt(1)
	global_store_byte v[4:5], v26, off
	global_store_byte v[6:7], v21, off offset:1024
	global_store_byte v[10:11], v22, off offset:2048
	global_store_byte v[12:13], v23, off offset:3072
	v_lshl_add_u64 v[4:5], s[42:43], 0, v[14:15]
	v_lshl_add_u64 v[4:5], v[4:5], 0, v[0:1]
	global_store_byte v[4:5], v24, off
	s_waitcnt lgkmcnt(0)
	v_lshl_add_u64 v[4:5], s[42:43], 0, v[16:17]
	v_lshl_add_u64 v[4:5], v[4:5], 0, v[8:9]
	global_store_byte v[4:5], v25, off
                                        ; implicit-def: $vgpr4_vgpr5
	s_and_saveexec_b64 s[0:1], s[2:3]
; %bb.122:
	v_mov_b32_e32 v21, v1
	v_lshl_add_u64 v[4:5], v[18:19], 0, v[20:21]
	s_or_b64 s[10:11], s[10:11], exec
; %bb.123:
	s_or_b64 exec, exec, s[0:1]
.LBB24_124:
	s_and_saveexec_b64 s[0:1], s[10:11]
	s_cbranch_execnz .LBB24_126
; %bb.125:
	s_endpgm
.LBB24_126:
	v_lshlrev_b32_e32 v0, 3, v2
	ds_read_b64 v[0:1], v0
	v_mov_b32_e32 v6, s30
	v_mov_b32_e32 v7, s31
	v_lshl_add_u64 v[2:3], v[2:3], 3, v[6:7]
	s_waitcnt lgkmcnt(0)
	v_lshl_add_u64 v[0:1], v[0:1], 0, v[4:5]
	global_store_dwordx2 v[2:3], v[0:1], off
	s_endpgm
.LBB24_127:
	global_load_ubyte v6, v[4:5], off
	s_or_b64 exec, exec, s[46:47]
                                        ; implicit-def: $vgpr7
	s_and_saveexec_b64 s[46:47], s[26:27]
	s_cbranch_execz .LBB24_59
.LBB24_128:
	global_load_ubyte v7, v[4:5], off offset:64
	s_or_b64 exec, exec, s[46:47]
                                        ; implicit-def: $vgpr9
	s_and_saveexec_b64 s[26:27], s[4:5]
	s_cbranch_execz .LBB24_60
.LBB24_129:
	global_load_ubyte v9, v[4:5], off offset:128
	s_or_b64 exec, exec, s[26:27]
                                        ; implicit-def: $vgpr11
	s_and_saveexec_b64 s[4:5], s[6:7]
	s_cbranch_execz .LBB24_61
.LBB24_130:
	global_load_ubyte v11, v[4:5], off offset:192
	s_or_b64 exec, exec, s[4:5]
                                        ; implicit-def: $vgpr15
	s_and_saveexec_b64 s[4:5], s[8:9]
	s_cbranch_execz .LBB24_62
.LBB24_131:
	global_load_ubyte v15, v[4:5], off offset:256
	s_or_b64 exec, exec, s[4:5]
                                        ; implicit-def: $vgpr17
	s_and_saveexec_b64 s[4:5], s[10:11]
	s_cbranch_execnz .LBB24_63
	s_branch .LBB24_64
.LBB24_132:
	v_lshlrev_b32_e32 v3, 3, v18
	ds_read_b64 v[6:7], v3
	ds_read_u8 v9, v2 offset:2048
	v_mov_b32_e32 v3, 0
	s_waitcnt lgkmcnt(1)
	v_lshl_add_u64 v[6:7], s[42:43], 0, v[6:7]
	v_lshl_add_u64 v[6:7], v[6:7], 0, v[2:3]
	s_waitcnt lgkmcnt(0)
	global_store_byte v[6:7], v9, off
	s_or_b64 exec, exec, s[4:5]
	s_and_saveexec_b64 s[4:5], s[16:17]
	s_cbranch_execz .LBB24_78
.LBB24_133:
	v_lshlrev_b32_e32 v3, 3, v13
	ds_read_b64 v[6:7], v3
	ds_read_u8 v9, v2 offset:3072
	v_mov_b32_e32 v3, 0
	s_waitcnt lgkmcnt(1)
	v_lshl_add_u64 v[6:7], s[42:43], 0, v[6:7]
	v_lshl_add_u64 v[6:7], v[6:7], 0, v[2:3]
	s_waitcnt lgkmcnt(0)
	global_store_byte v[6:7], v9, off offset:1024
	s_or_b64 exec, exec, s[4:5]
	s_and_saveexec_b64 s[4:5], s[18:19]
	s_cbranch_execz .LBB24_79
.LBB24_134:
	v_lshlrev_b32_e32 v3, 3, v16
	ds_read_b64 v[6:7], v3
	ds_read_u8 v9, v2 offset:4096
	v_mov_b32_e32 v3, 0
	s_waitcnt lgkmcnt(1)
	v_lshl_add_u64 v[6:7], s[42:43], 0, v[6:7]
	v_lshl_add_u64 v[6:7], v[6:7], 0, v[2:3]
	s_waitcnt lgkmcnt(0)
	global_store_byte v[6:7], v9, off offset:2048
	s_or_b64 exec, exec, s[4:5]
	s_and_saveexec_b64 s[4:5], s[20:21]
	s_cbranch_execz .LBB24_80
.LBB24_135:
	v_lshlrev_b32_e32 v3, 3, v5
	ds_read_b64 v[6:7], v3
	ds_read_u8 v5, v2 offset:5120
	v_mov_b32_e32 v3, 0
	s_waitcnt lgkmcnt(1)
	v_lshl_add_u64 v[6:7], s[42:43], 0, v[6:7]
	v_lshl_add_u64 v[6:7], v[6:7], 0, v[2:3]
	s_waitcnt lgkmcnt(0)
	global_store_byte v[6:7], v5, off offset:3072
	s_or_b64 exec, exec, s[4:5]
	s_and_saveexec_b64 s[4:5], s[22:23]
	s_cbranch_execz .LBB24_81
.LBB24_136:
	v_lshlrev_b32_e32 v3, 3, v14
	ds_read_b64 v[6:7], v3
	ds_read_u8 v3, v2 offset:6144
	v_mov_b32_e32 v9, 0
	s_waitcnt lgkmcnt(1)
	v_lshl_add_u64 v[6:7], s[42:43], 0, v[6:7]
	v_lshl_add_u64 v[6:7], v[6:7], 0, v[8:9]
	s_waitcnt lgkmcnt(0)
	global_store_byte v[6:7], v3, off
	s_or_b64 exec, exec, s[4:5]
	s_and_saveexec_b64 s[4:5], s[24:25]
	s_cbranch_execnz .LBB24_82
	s_branch .LBB24_83
	.section	.rodata,"a",@progbits
	.p2align	6, 0x0
	.amdhsa_kernel _ZN7rocprim17ROCPRIM_304000_NS6detail25onesweep_iteration_kernelINS1_34wrapped_radix_sort_onesweep_configINS0_14default_configElN2at4cuda3cub6detail10OpaqueTypeILi1EEEEELb0EPKlPlPKSA_PSA_mNS0_19identity_decomposerEEEvT1_T2_T3_T4_jPT5_SO_PNS1_23onesweep_lookback_stateET6_jjj
		.amdhsa_group_segment_fixed_size 51200
		.amdhsa_private_segment_fixed_size 0
		.amdhsa_kernarg_size 336
		.amdhsa_user_sgpr_count 2
		.amdhsa_user_sgpr_dispatch_ptr 0
		.amdhsa_user_sgpr_queue_ptr 0
		.amdhsa_user_sgpr_kernarg_segment_ptr 1
		.amdhsa_user_sgpr_dispatch_id 0
		.amdhsa_user_sgpr_kernarg_preload_length 0
		.amdhsa_user_sgpr_kernarg_preload_offset 0
		.amdhsa_user_sgpr_private_segment_size 0
		.amdhsa_uses_dynamic_stack 0
		.amdhsa_enable_private_segment 0
		.amdhsa_system_sgpr_workgroup_id_x 1
		.amdhsa_system_sgpr_workgroup_id_y 0
		.amdhsa_system_sgpr_workgroup_id_z 0
		.amdhsa_system_sgpr_workgroup_info 0
		.amdhsa_system_vgpr_workitem_id 2
		.amdhsa_next_free_vgpr 46
		.amdhsa_next_free_sgpr 50
		.amdhsa_accum_offset 48
		.amdhsa_reserve_vcc 1
		.amdhsa_float_round_mode_32 0
		.amdhsa_float_round_mode_16_64 0
		.amdhsa_float_denorm_mode_32 3
		.amdhsa_float_denorm_mode_16_64 3
		.amdhsa_dx10_clamp 1
		.amdhsa_ieee_mode 1
		.amdhsa_fp16_overflow 0
		.amdhsa_tg_split 0
		.amdhsa_exception_fp_ieee_invalid_op 0
		.amdhsa_exception_fp_denorm_src 0
		.amdhsa_exception_fp_ieee_div_zero 0
		.amdhsa_exception_fp_ieee_overflow 0
		.amdhsa_exception_fp_ieee_underflow 0
		.amdhsa_exception_fp_ieee_inexact 0
		.amdhsa_exception_int_div_zero 0
	.end_amdhsa_kernel
	.section	.text._ZN7rocprim17ROCPRIM_304000_NS6detail25onesweep_iteration_kernelINS1_34wrapped_radix_sort_onesweep_configINS0_14default_configElN2at4cuda3cub6detail10OpaqueTypeILi1EEEEELb0EPKlPlPKSA_PSA_mNS0_19identity_decomposerEEEvT1_T2_T3_T4_jPT5_SO_PNS1_23onesweep_lookback_stateET6_jjj,"axG",@progbits,_ZN7rocprim17ROCPRIM_304000_NS6detail25onesweep_iteration_kernelINS1_34wrapped_radix_sort_onesweep_configINS0_14default_configElN2at4cuda3cub6detail10OpaqueTypeILi1EEEEELb0EPKlPlPKSA_PSA_mNS0_19identity_decomposerEEEvT1_T2_T3_T4_jPT5_SO_PNS1_23onesweep_lookback_stateET6_jjj,comdat
.Lfunc_end24:
	.size	_ZN7rocprim17ROCPRIM_304000_NS6detail25onesweep_iteration_kernelINS1_34wrapped_radix_sort_onesweep_configINS0_14default_configElN2at4cuda3cub6detail10OpaqueTypeILi1EEEEELb0EPKlPlPKSA_PSA_mNS0_19identity_decomposerEEEvT1_T2_T3_T4_jPT5_SO_PNS1_23onesweep_lookback_stateET6_jjj, .Lfunc_end24-_ZN7rocprim17ROCPRIM_304000_NS6detail25onesweep_iteration_kernelINS1_34wrapped_radix_sort_onesweep_configINS0_14default_configElN2at4cuda3cub6detail10OpaqueTypeILi1EEEEELb0EPKlPlPKSA_PSA_mNS0_19identity_decomposerEEEvT1_T2_T3_T4_jPT5_SO_PNS1_23onesweep_lookback_stateET6_jjj
                                        ; -- End function
	.section	.AMDGPU.csdata,"",@progbits
; Kernel info:
; codeLenInByte = 11124
; NumSgprs: 56
; NumVgprs: 46
; NumAgprs: 0
; TotalNumVgprs: 46
; ScratchSize: 0
; MemoryBound: 0
; FloatMode: 240
; IeeeMode: 1
; LDSByteSize: 51200 bytes/workgroup (compile time only)
; SGPRBlocks: 6
; VGPRBlocks: 5
; NumSGPRsForWavesPerEU: 56
; NumVGPRsForWavesPerEU: 46
; AccumOffset: 48
; Occupancy: 4
; WaveLimiterHint : 1
; COMPUTE_PGM_RSRC2:SCRATCH_EN: 0
; COMPUTE_PGM_RSRC2:USER_SGPR: 2
; COMPUTE_PGM_RSRC2:TRAP_HANDLER: 0
; COMPUTE_PGM_RSRC2:TGID_X_EN: 1
; COMPUTE_PGM_RSRC2:TGID_Y_EN: 0
; COMPUTE_PGM_RSRC2:TGID_Z_EN: 0
; COMPUTE_PGM_RSRC2:TIDIG_COMP_CNT: 2
; COMPUTE_PGM_RSRC3_GFX90A:ACCUM_OFFSET: 11
; COMPUTE_PGM_RSRC3_GFX90A:TG_SPLIT: 0
	.section	.text._ZN7rocprim17ROCPRIM_304000_NS6detail25onesweep_iteration_kernelINS1_34wrapped_radix_sort_onesweep_configINS0_14default_configElN2at4cuda3cub6detail10OpaqueTypeILi1EEEEELb0EPlSC_PSA_SD_mNS0_19identity_decomposerEEEvT1_T2_T3_T4_jPT5_SK_PNS1_23onesweep_lookback_stateET6_jjj,"axG",@progbits,_ZN7rocprim17ROCPRIM_304000_NS6detail25onesweep_iteration_kernelINS1_34wrapped_radix_sort_onesweep_configINS0_14default_configElN2at4cuda3cub6detail10OpaqueTypeILi1EEEEELb0EPlSC_PSA_SD_mNS0_19identity_decomposerEEEvT1_T2_T3_T4_jPT5_SK_PNS1_23onesweep_lookback_stateET6_jjj,comdat
	.protected	_ZN7rocprim17ROCPRIM_304000_NS6detail25onesweep_iteration_kernelINS1_34wrapped_radix_sort_onesweep_configINS0_14default_configElN2at4cuda3cub6detail10OpaqueTypeILi1EEEEELb0EPlSC_PSA_SD_mNS0_19identity_decomposerEEEvT1_T2_T3_T4_jPT5_SK_PNS1_23onesweep_lookback_stateET6_jjj ; -- Begin function _ZN7rocprim17ROCPRIM_304000_NS6detail25onesweep_iteration_kernelINS1_34wrapped_radix_sort_onesweep_configINS0_14default_configElN2at4cuda3cub6detail10OpaqueTypeILi1EEEEELb0EPlSC_PSA_SD_mNS0_19identity_decomposerEEEvT1_T2_T3_T4_jPT5_SK_PNS1_23onesweep_lookback_stateET6_jjj
	.globl	_ZN7rocprim17ROCPRIM_304000_NS6detail25onesweep_iteration_kernelINS1_34wrapped_radix_sort_onesweep_configINS0_14default_configElN2at4cuda3cub6detail10OpaqueTypeILi1EEEEELb0EPlSC_PSA_SD_mNS0_19identity_decomposerEEEvT1_T2_T3_T4_jPT5_SK_PNS1_23onesweep_lookback_stateET6_jjj
	.p2align	8
	.type	_ZN7rocprim17ROCPRIM_304000_NS6detail25onesweep_iteration_kernelINS1_34wrapped_radix_sort_onesweep_configINS0_14default_configElN2at4cuda3cub6detail10OpaqueTypeILi1EEEEELb0EPlSC_PSA_SD_mNS0_19identity_decomposerEEEvT1_T2_T3_T4_jPT5_SK_PNS1_23onesweep_lookback_stateET6_jjj,@function
_ZN7rocprim17ROCPRIM_304000_NS6detail25onesweep_iteration_kernelINS1_34wrapped_radix_sort_onesweep_configINS0_14default_configElN2at4cuda3cub6detail10OpaqueTypeILi1EEEEELb0EPlSC_PSA_SD_mNS0_19identity_decomposerEEEvT1_T2_T3_T4_jPT5_SK_PNS1_23onesweep_lookback_stateET6_jjj: ; @_ZN7rocprim17ROCPRIM_304000_NS6detail25onesweep_iteration_kernelINS1_34wrapped_radix_sort_onesweep_configINS0_14default_configElN2at4cuda3cub6detail10OpaqueTypeILi1EEEEELb0EPlSC_PSA_SD_mNS0_19identity_decomposerEEEvT1_T2_T3_T4_jPT5_SK_PNS1_23onesweep_lookback_stateET6_jjj
; %bb.0:
	s_load_dwordx4 s[44:47], s[0:1], 0x44
	s_load_dwordx8 s[36:43], s[0:1], 0x0
	s_load_dwordx4 s[28:31], s[0:1], 0x28
	s_load_dwordx2 s[48:49], s[0:1], 0x38
	s_mul_i32 s34, s2, 0x1800
	s_waitcnt lgkmcnt(0)
	s_cmp_ge_u32 s2, s46
	v_mbcnt_lo_u32_b32 v1, -1, 0
	s_cbranch_scc0 .LBB25_86
; %bb.1:
	s_load_dword s3, s[0:1], 0x20
	s_mul_i32 s33, s46, 0xffffe800
	s_mov_b32 s35, 0
	v_and_b32_e32 v2, 0x3ff, v0
	s_lshl_b64 s[4:5], s[34:35], 3
	s_waitcnt lgkmcnt(0)
	s_add_i32 s33, s33, s3
	s_add_u32 s6, s36, s4
	v_mbcnt_hi_u32_b32 v4, -1, v1
	v_and_b32_e32 v3, 0x3c0, v2
	v_mov_b32_e32 v5, 0
	s_addc_u32 s7, s37, s5
	s_mov_b32 s4, -1
	v_mul_u32_u24_e32 v6, 6, v3
	v_lshlrev_b32_e32 v8, 3, v4
	v_mov_b32_e32 v9, v5
	s_brev_b32 s5, -2
	v_lshl_add_u64 v[8:9], s[6:7], 0, v[8:9]
	v_lshlrev_b32_e32 v10, 3, v6
	v_mov_b32_e32 v11, v5
	v_or_b32_e32 v3, v4, v6
	v_lshl_add_u64 v[20:21], v[8:9], 0, v[10:11]
	v_cmp_gt_u32_e32 vcc, s33, v3
	v_mov_b64_e32 v[8:9], s[4:5]
	s_and_saveexec_b64 s[6:7], vcc
	s_cbranch_execz .LBB25_3
; %bb.2:
	global_load_dwordx2 v[8:9], v[20:21], off
.LBB25_3:
	s_or_b64 exec, exec, s[6:7]
	v_add_u32_e32 v7, 64, v3
	v_cmp_gt_u32_e64 s[26:27], s33, v7
	v_mov_b64_e32 v[10:11], s[4:5]
	s_and_saveexec_b64 s[4:5], s[26:27]
	s_cbranch_execz .LBB25_5
; %bb.4:
	global_load_dwordx2 v[10:11], v[20:21], off offset:512
.LBB25_5:
	s_or_b64 exec, exec, s[4:5]
	s_mov_b32 s8, -1
	v_add_u32_e32 v7, 0x80, v3
	s_brev_b32 s9, -2
	v_cmp_gt_u32_e64 s[4:5], s33, v7
	v_mov_b64_e32 v[12:13], s[8:9]
	s_and_saveexec_b64 s[6:7], s[4:5]
	s_cbranch_execz .LBB25_7
; %bb.6:
	global_load_dwordx2 v[12:13], v[20:21], off offset:1024
.LBB25_7:
	s_or_b64 exec, exec, s[6:7]
	v_add_u32_e32 v7, 0xc0, v3
	v_cmp_gt_u32_e64 s[6:7], s33, v7
	v_mov_b64_e32 v[14:15], s[8:9]
	s_and_saveexec_b64 s[8:9], s[6:7]
	s_cbranch_execz .LBB25_9
; %bb.8:
	global_load_dwordx2 v[14:15], v[20:21], off offset:1536
.LBB25_9:
	s_or_b64 exec, exec, s[8:9]
	s_mov_b32 s12, -1
	v_add_u32_e32 v7, 0x100, v3
	s_brev_b32 s13, -2
	v_cmp_gt_u32_e64 s[8:9], s33, v7
	v_mov_b64_e32 v[16:17], s[12:13]
	s_and_saveexec_b64 s[10:11], s[8:9]
	s_cbranch_execz .LBB25_11
; %bb.10:
	global_load_dwordx2 v[16:17], v[20:21], off offset:2048
.LBB25_11:
	s_or_b64 exec, exec, s[10:11]
	v_add_u32_e32 v3, 0x140, v3
	v_cmp_gt_u32_e64 s[10:11], s33, v3
	v_mov_b64_e32 v[18:19], s[12:13]
	s_and_saveexec_b64 s[12:13], s[10:11]
	s_cbranch_execz .LBB25_13
; %bb.12:
	global_load_dwordx2 v[18:19], v[20:21], off offset:2560
.LBB25_13:
	s_or_b64 exec, exec, s[12:13]
	s_load_dword s12, s[0:1], 0x5c
	s_load_dword s3, s[0:1], 0x50
	s_add_u32 s13, s0, 0x50
	s_addc_u32 s14, s1, 0
	v_mov_b32_e32 v21, 0
	s_waitcnt lgkmcnt(0)
	s_lshr_b32 s15, s12, 16
	s_cmp_lt_u32 s2, s3
	s_cselect_b32 s12, 12, 18
	s_add_u32 s12, s13, s12
	s_addc_u32 s13, s14, 0
	global_load_ushort v7, v21, s[12:13]
	s_waitcnt vmcnt(1)
	v_xor_b32_e32 v9, 0x80000000, v9
	s_lshl_b32 s12, -1, s45
	v_lshrrev_b64 v[22:23], s44, v[8:9]
	s_not_b32 s35, s12
	v_bfe_u32 v20, v0, 10, 10
	v_bfe_u32 v25, v0, 20, 10
	v_and_b32_e32 v37, s35, v22
	v_mad_u32_u24 v36, v25, s15, v20
	v_and_b32_e32 v20, 1, v37
	v_lshlrev_b32_e32 v25, 30, v37
	v_mov_b32_e32 v24, v21
	v_lshlrev_b32_e32 v27, 29, v37
	v_lshl_add_u64 v[22:23], v[20:21], 0, -1
	v_cmp_ne_u32_e64 s[12:13], 0, v20
	v_not_b32_e32 v20, v25
	v_mov_b32_e32 v26, v21
	v_mov_b32_e32 v28, v21
	v_lshlrev_b32_e32 v29, 28, v37
	v_cmp_gt_i64_e64 s[14:15], 0, v[24:25]
	v_not_b32_e32 v24, v27
	v_xor_b32_e32 v23, s13, v23
	v_ashrrev_i32_e32 v20, 31, v20
	v_mov_b32_e32 v30, v21
	v_lshlrev_b32_e32 v31, 27, v37
	v_cmp_gt_i64_e64 s[16:17], 0, v[26:27]
	v_cmp_gt_i64_e64 s[18:19], 0, v[28:29]
	v_not_b32_e32 v25, v29
	v_xor_b32_e32 v22, s12, v22
	v_ashrrev_i32_e32 v24, 31, v24
	v_and_b32_e32 v23, exec_hi, v23
	v_xor_b32_e32 v29, s15, v20
	v_lshlrev_b32_e32 v33, 26, v37
	v_cmp_gt_i64_e64 s[20:21], 0, v[30:31]
	v_not_b32_e32 v26, v31
	v_ashrrev_i32_e32 v25, 31, v25
	v_and_b32_e32 v22, exec_lo, v22
	v_xor_b32_e32 v20, s14, v20
	v_xor_b32_e32 v30, s17, v24
	v_and_b32_e32 v23, v23, v29
	v_mov_b32_e32 v32, v21
	v_lshlrev_b32_e32 v35, 25, v37
	v_not_b32_e32 v27, v33
	v_ashrrev_i32_e32 v26, 31, v26
	v_xor_b32_e32 v31, s19, v25
	v_and_b32_e32 v20, v22, v20
	v_and_b32_e32 v22, v23, v30
	v_mov_b32_e32 v34, v21
	v_cmp_gt_i64_e64 s[22:23], 0, v[32:33]
	v_not_b32_e32 v28, v35
	v_ashrrev_i32_e32 v27, 31, v27
	v_xor_b32_e32 v32, s21, v26
	v_and_b32_e32 v22, v22, v31
	v_mul_u32_u24_e32 v3, 5, v2
	v_cmp_gt_i64_e64 s[24:25], 0, v[34:35]
	v_ashrrev_i32_e32 v28, 31, v28
	v_xor_b32_e32 v33, s23, v27
	v_and_b32_e32 v22, v22, v32
	v_lshlrev_b32_e32 v3, 2, v3
	v_xor_b32_e32 v24, s16, v24
	v_xor_b32_e32 v34, s25, v28
	v_and_b32_e32 v22, v22, v33
	v_xor_b32_e32 v25, s18, v25
	v_and_b32_e32 v20, v20, v24
	v_and_b32_e32 v24, v22, v34
	v_xor_b32_e32 v26, s20, v26
	v_and_b32_e32 v20, v20, v25
	v_xor_b32_e32 v27, s22, v27
	;; [unrolled: 2-line block ×3, first 2 shown]
	v_and_b32_e32 v20, v20, v27
	v_and_b32_e32 v20, v20, v28
	v_lshl_add_u32 v38, v37, 4, v37
	ds_write2_b32 v3, v21, v21 offset0:16 offset1:17
	ds_write2_b32 v3, v21, v21 offset0:18 offset1:19
	ds_write_b32 v3, v21 offset:80
	s_waitcnt lgkmcnt(0)
	s_barrier
	s_waitcnt lgkmcnt(0)
	; wave barrier
	s_waitcnt vmcnt(0)
	v_mad_u64_u32 v[22:23], s[12:13], v36, v7, v[2:3]
	v_lshrrev_b32_e32 v32, 6, v22
	v_lshlrev_b32_e32 v23, 24, v37
	v_mov_b32_e32 v22, v21
	v_cmp_gt_i64_e64 s[12:13], 0, v[22:23]
	v_not_b32_e32 v22, v23
	v_ashrrev_i32_e32 v22, 31, v22
	v_xor_b32_e32 v23, s13, v22
	v_xor_b32_e32 v22, s12, v22
	v_and_b32_e32 v22, v20, v22
	v_and_b32_e32 v23, v24, v23
	v_mbcnt_lo_u32_b32 v20, v22, 0
	v_mbcnt_hi_u32_b32 v24, v23, v20
	v_cmp_eq_u32_e64 s[12:13], 0, v24
	v_cmp_ne_u64_e64 s[14:15], 0, v[22:23]
	v_add_lshl_u32 v7, v32, v38, 2
	s_and_b64 s[14:15], s[14:15], s[12:13]
	s_and_saveexec_b64 s[12:13], s[14:15]
	s_cbranch_execz .LBB25_15
; %bb.14:
	v_bcnt_u32_b32 v20, v22, 0
	v_bcnt_u32_b32 v20, v23, v20
	ds_write_b32 v7, v20 offset:64
.LBB25_15:
	s_or_b64 exec, exec, s[12:13]
	v_xor_b32_e32 v11, 0x80000000, v11
	v_lshrrev_b64 v[22:23], s44, v[10:11]
	v_and_b32_e32 v27, s35, v22
	v_lshl_add_u32 v20, v27, 4, v27
	v_add_lshl_u32 v26, v32, v20, 2
	v_and_b32_e32 v20, 1, v27
	v_lshl_add_u64 v[22:23], v[20:21], 0, -1
	v_cmp_ne_u32_e64 s[12:13], 0, v20
	; wave barrier
	s_nop 1
	v_xor_b32_e32 v22, s12, v22
	v_xor_b32_e32 v20, s13, v23
	v_and_b32_e32 v28, exec_lo, v22
	v_lshlrev_b32_e32 v23, 30, v27
	v_mov_b32_e32 v22, v21
	v_cmp_gt_i64_e64 s[12:13], 0, v[22:23]
	v_not_b32_e32 v22, v23
	v_ashrrev_i32_e32 v22, 31, v22
	v_and_b32_e32 v20, exec_hi, v20
	v_xor_b32_e32 v23, s13, v22
	v_xor_b32_e32 v22, s12, v22
	v_and_b32_e32 v20, v20, v23
	v_and_b32_e32 v28, v28, v22
	v_lshlrev_b32_e32 v23, 29, v27
	v_mov_b32_e32 v22, v21
	v_cmp_gt_i64_e64 s[12:13], 0, v[22:23]
	v_not_b32_e32 v22, v23
	v_ashrrev_i32_e32 v22, 31, v22
	v_xor_b32_e32 v23, s13, v22
	v_xor_b32_e32 v22, s12, v22
	v_and_b32_e32 v20, v20, v23
	v_and_b32_e32 v28, v28, v22
	v_lshlrev_b32_e32 v23, 28, v27
	v_mov_b32_e32 v22, v21
	v_cmp_gt_i64_e64 s[12:13], 0, v[22:23]
	v_not_b32_e32 v22, v23
	v_ashrrev_i32_e32 v22, 31, v22
	;; [unrolled: 9-line block ×5, first 2 shown]
	v_xor_b32_e32 v23, s13, v22
	v_xor_b32_e32 v22, s12, v22
	v_and_b32_e32 v20, v20, v23
	v_lshlrev_b32_e32 v23, 24, v27
	v_and_b32_e32 v28, v28, v22
	v_mov_b32_e32 v22, v21
	v_not_b32_e32 v21, v23
	v_cmp_gt_i64_e64 s[12:13], 0, v[22:23]
	v_ashrrev_i32_e32 v21, 31, v21
	ds_read_b32 v25, v26 offset:64
	v_xor_b32_e32 v22, s13, v21
	v_xor_b32_e32 v23, s12, v21
	v_and_b32_e32 v21, v20, v22
	v_and_b32_e32 v20, v28, v23
	v_mbcnt_lo_u32_b32 v22, v20, 0
	v_mbcnt_hi_u32_b32 v27, v21, v22
	v_cmp_eq_u32_e64 s[12:13], 0, v27
	v_cmp_ne_u64_e64 s[14:15], 0, v[20:21]
	s_and_b64 s[14:15], s[14:15], s[12:13]
	; wave barrier
	s_and_saveexec_b64 s[12:13], s[14:15]
	s_cbranch_execz .LBB25_17
; %bb.16:
	v_bcnt_u32_b32 v20, v20, 0
	v_bcnt_u32_b32 v20, v21, v20
	s_waitcnt lgkmcnt(0)
	v_add_u32_e32 v20, v25, v20
	ds_write_b32 v26, v20 offset:64
.LBB25_17:
	s_or_b64 exec, exec, s[12:13]
	v_xor_b32_e32 v13, 0x80000000, v13
	v_lshrrev_b64 v[20:21], s44, v[12:13]
	v_and_b32_e32 v30, s35, v20
	v_lshl_add_u32 v20, v30, 4, v30
	v_add_lshl_u32 v29, v32, v20, 2
	v_and_b32_e32 v20, 1, v30
	v_mov_b32_e32 v21, 0
	v_lshl_add_u64 v[22:23], v[20:21], 0, -1
	v_cmp_ne_u32_e64 s[12:13], 0, v20
	; wave barrier
	s_nop 1
	v_xor_b32_e32 v22, s12, v22
	v_xor_b32_e32 v20, s13, v23
	v_and_b32_e32 v31, exec_lo, v22
	v_lshlrev_b32_e32 v23, 30, v30
	v_mov_b32_e32 v22, v21
	v_cmp_gt_i64_e64 s[12:13], 0, v[22:23]
	v_not_b32_e32 v22, v23
	v_ashrrev_i32_e32 v22, 31, v22
	v_and_b32_e32 v20, exec_hi, v20
	v_xor_b32_e32 v23, s13, v22
	v_xor_b32_e32 v22, s12, v22
	v_and_b32_e32 v20, v20, v23
	v_and_b32_e32 v31, v31, v22
	v_lshlrev_b32_e32 v23, 29, v30
	v_mov_b32_e32 v22, v21
	v_cmp_gt_i64_e64 s[12:13], 0, v[22:23]
	v_not_b32_e32 v22, v23
	v_ashrrev_i32_e32 v22, 31, v22
	v_xor_b32_e32 v23, s13, v22
	v_xor_b32_e32 v22, s12, v22
	v_and_b32_e32 v20, v20, v23
	v_and_b32_e32 v31, v31, v22
	v_lshlrev_b32_e32 v23, 28, v30
	v_mov_b32_e32 v22, v21
	v_cmp_gt_i64_e64 s[12:13], 0, v[22:23]
	v_not_b32_e32 v22, v23
	v_ashrrev_i32_e32 v22, 31, v22
	;; [unrolled: 9-line block ×6, first 2 shown]
	v_xor_b32_e32 v23, s13, v22
	v_xor_b32_e32 v22, s12, v22
	ds_read_b32 v28, v29 offset:64
	v_and_b32_e32 v22, v31, v22
	v_and_b32_e32 v23, v20, v23
	v_mbcnt_lo_u32_b32 v20, v22, 0
	v_mbcnt_hi_u32_b32 v30, v23, v20
	v_cmp_eq_u32_e64 s[12:13], 0, v30
	v_cmp_ne_u64_e64 s[14:15], 0, v[22:23]
	s_and_b64 s[14:15], s[14:15], s[12:13]
	; wave barrier
	s_and_saveexec_b64 s[12:13], s[14:15]
	s_cbranch_execz .LBB25_19
; %bb.18:
	v_bcnt_u32_b32 v20, v22, 0
	v_bcnt_u32_b32 v20, v23, v20
	s_waitcnt lgkmcnt(0)
	v_add_u32_e32 v20, v28, v20
	ds_write_b32 v29, v20 offset:64
.LBB25_19:
	s_or_b64 exec, exec, s[12:13]
	v_xor_b32_e32 v15, 0x80000000, v15
	v_lshrrev_b64 v[22:23], s44, v[14:15]
	v_and_b32_e32 v34, s35, v22
	v_lshl_add_u32 v20, v34, 4, v34
	v_add_lshl_u32 v33, v32, v20, 2
	v_and_b32_e32 v20, 1, v34
	v_lshl_add_u64 v[22:23], v[20:21], 0, -1
	v_cmp_ne_u32_e64 s[12:13], 0, v20
	; wave barrier
	s_nop 1
	v_xor_b32_e32 v22, s12, v22
	v_xor_b32_e32 v20, s13, v23
	v_and_b32_e32 v35, exec_lo, v22
	v_lshlrev_b32_e32 v23, 30, v34
	v_mov_b32_e32 v22, v21
	v_cmp_gt_i64_e64 s[12:13], 0, v[22:23]
	v_not_b32_e32 v22, v23
	v_ashrrev_i32_e32 v22, 31, v22
	v_and_b32_e32 v20, exec_hi, v20
	v_xor_b32_e32 v23, s13, v22
	v_xor_b32_e32 v22, s12, v22
	v_and_b32_e32 v20, v20, v23
	v_and_b32_e32 v35, v35, v22
	v_lshlrev_b32_e32 v23, 29, v34
	v_mov_b32_e32 v22, v21
	v_cmp_gt_i64_e64 s[12:13], 0, v[22:23]
	v_not_b32_e32 v22, v23
	v_ashrrev_i32_e32 v22, 31, v22
	v_xor_b32_e32 v23, s13, v22
	v_xor_b32_e32 v22, s12, v22
	v_and_b32_e32 v20, v20, v23
	v_and_b32_e32 v35, v35, v22
	v_lshlrev_b32_e32 v23, 28, v34
	v_mov_b32_e32 v22, v21
	v_cmp_gt_i64_e64 s[12:13], 0, v[22:23]
	v_not_b32_e32 v22, v23
	v_ashrrev_i32_e32 v22, 31, v22
	v_xor_b32_e32 v23, s13, v22
	v_xor_b32_e32 v22, s12, v22
	v_and_b32_e32 v20, v20, v23
	v_and_b32_e32 v35, v35, v22
	v_lshlrev_b32_e32 v23, 27, v34
	v_mov_b32_e32 v22, v21
	v_cmp_gt_i64_e64 s[12:13], 0, v[22:23]
	v_not_b32_e32 v22, v23
	v_ashrrev_i32_e32 v22, 31, v22
	v_xor_b32_e32 v23, s13, v22
	v_xor_b32_e32 v22, s12, v22
	v_and_b32_e32 v20, v20, v23
	v_and_b32_e32 v35, v35, v22
	v_lshlrev_b32_e32 v23, 26, v34
	v_mov_b32_e32 v22, v21
	v_cmp_gt_i64_e64 s[12:13], 0, v[22:23]
	v_not_b32_e32 v22, v23
	v_ashrrev_i32_e32 v22, 31, v22
	v_xor_b32_e32 v23, s13, v22
	v_xor_b32_e32 v22, s12, v22
	v_and_b32_e32 v20, v20, v23
	v_and_b32_e32 v35, v35, v22
	v_lshlrev_b32_e32 v23, 25, v34
	v_mov_b32_e32 v22, v21
	v_cmp_gt_i64_e64 s[12:13], 0, v[22:23]
	v_not_b32_e32 v22, v23
	v_ashrrev_i32_e32 v22, 31, v22
	v_xor_b32_e32 v23, s13, v22
	v_xor_b32_e32 v22, s12, v22
	v_and_b32_e32 v20, v20, v23
	v_lshlrev_b32_e32 v23, 24, v34
	v_and_b32_e32 v35, v35, v22
	v_mov_b32_e32 v22, v21
	v_not_b32_e32 v21, v23
	v_cmp_gt_i64_e64 s[12:13], 0, v[22:23]
	v_ashrrev_i32_e32 v21, 31, v21
	ds_read_b32 v31, v33 offset:64
	v_xor_b32_e32 v22, s13, v21
	v_xor_b32_e32 v23, s12, v21
	v_and_b32_e32 v21, v20, v22
	v_and_b32_e32 v20, v35, v23
	v_mbcnt_lo_u32_b32 v22, v20, 0
	v_mbcnt_hi_u32_b32 v34, v21, v22
	v_cmp_eq_u32_e64 s[12:13], 0, v34
	v_cmp_ne_u64_e64 s[14:15], 0, v[20:21]
	s_and_b64 s[14:15], s[14:15], s[12:13]
	; wave barrier
	s_and_saveexec_b64 s[12:13], s[14:15]
	s_cbranch_execz .LBB25_21
; %bb.20:
	v_bcnt_u32_b32 v20, v20, 0
	v_bcnt_u32_b32 v20, v21, v20
	s_waitcnt lgkmcnt(0)
	v_add_u32_e32 v20, v31, v20
	ds_write_b32 v33, v20 offset:64
.LBB25_21:
	s_or_b64 exec, exec, s[12:13]
	v_xor_b32_e32 v17, 0x80000000, v17
	v_lshrrev_b64 v[20:21], s44, v[16:17]
	v_and_b32_e32 v37, s35, v20
	v_lshl_add_u32 v20, v37, 4, v37
	v_add_lshl_u32 v36, v32, v20, 2
	v_and_b32_e32 v20, 1, v37
	v_mov_b32_e32 v21, 0
	v_lshl_add_u64 v[22:23], v[20:21], 0, -1
	v_cmp_ne_u32_e64 s[12:13], 0, v20
	; wave barrier
	s_nop 1
	v_xor_b32_e32 v22, s12, v22
	v_xor_b32_e32 v20, s13, v23
	v_and_b32_e32 v38, exec_lo, v22
	v_lshlrev_b32_e32 v23, 30, v37
	v_mov_b32_e32 v22, v21
	v_cmp_gt_i64_e64 s[12:13], 0, v[22:23]
	v_not_b32_e32 v22, v23
	v_ashrrev_i32_e32 v22, 31, v22
	v_and_b32_e32 v20, exec_hi, v20
	v_xor_b32_e32 v23, s13, v22
	v_xor_b32_e32 v22, s12, v22
	v_and_b32_e32 v20, v20, v23
	v_and_b32_e32 v38, v38, v22
	v_lshlrev_b32_e32 v23, 29, v37
	v_mov_b32_e32 v22, v21
	v_cmp_gt_i64_e64 s[12:13], 0, v[22:23]
	v_not_b32_e32 v22, v23
	v_ashrrev_i32_e32 v22, 31, v22
	v_xor_b32_e32 v23, s13, v22
	v_xor_b32_e32 v22, s12, v22
	v_and_b32_e32 v20, v20, v23
	v_and_b32_e32 v38, v38, v22
	v_lshlrev_b32_e32 v23, 28, v37
	v_mov_b32_e32 v22, v21
	v_cmp_gt_i64_e64 s[12:13], 0, v[22:23]
	v_not_b32_e32 v22, v23
	v_ashrrev_i32_e32 v22, 31, v22
	;; [unrolled: 9-line block ×6, first 2 shown]
	v_xor_b32_e32 v23, s13, v22
	v_xor_b32_e32 v22, s12, v22
	ds_read_b32 v35, v36 offset:64
	v_and_b32_e32 v22, v38, v22
	v_and_b32_e32 v23, v20, v23
	v_mbcnt_lo_u32_b32 v20, v22, 0
	v_mbcnt_hi_u32_b32 v37, v23, v20
	v_cmp_eq_u32_e64 s[12:13], 0, v37
	v_cmp_ne_u64_e64 s[14:15], 0, v[22:23]
	s_and_b64 s[14:15], s[14:15], s[12:13]
	; wave barrier
	s_and_saveexec_b64 s[12:13], s[14:15]
	s_cbranch_execz .LBB25_23
; %bb.22:
	v_bcnt_u32_b32 v20, v22, 0
	v_bcnt_u32_b32 v20, v23, v20
	s_waitcnt lgkmcnt(0)
	v_add_u32_e32 v20, v35, v20
	ds_write_b32 v36, v20 offset:64
.LBB25_23:
	s_or_b64 exec, exec, s[12:13]
	v_xor_b32_e32 v19, 0x80000000, v19
	v_lshrrev_b64 v[22:23], s44, v[18:19]
	v_and_b32_e32 v40, s35, v22
	v_lshl_add_u32 v20, v40, 4, v40
	v_add_lshl_u32 v39, v32, v20, 2
	v_and_b32_e32 v20, 1, v40
	v_lshl_add_u64 v[22:23], v[20:21], 0, -1
	v_cmp_ne_u32_e64 s[12:13], 0, v20
	; wave barrier
	s_nop 1
	v_xor_b32_e32 v22, s12, v22
	v_xor_b32_e32 v20, s13, v23
	v_and_b32_e32 v41, exec_lo, v22
	v_lshlrev_b32_e32 v23, 30, v40
	v_mov_b32_e32 v22, v21
	v_cmp_gt_i64_e64 s[12:13], 0, v[22:23]
	v_not_b32_e32 v22, v23
	v_ashrrev_i32_e32 v22, 31, v22
	v_and_b32_e32 v20, exec_hi, v20
	v_xor_b32_e32 v23, s13, v22
	v_xor_b32_e32 v22, s12, v22
	v_and_b32_e32 v20, v20, v23
	v_and_b32_e32 v41, v41, v22
	v_lshlrev_b32_e32 v23, 29, v40
	v_mov_b32_e32 v22, v21
	v_cmp_gt_i64_e64 s[12:13], 0, v[22:23]
	v_not_b32_e32 v22, v23
	v_ashrrev_i32_e32 v22, 31, v22
	v_xor_b32_e32 v23, s13, v22
	v_xor_b32_e32 v22, s12, v22
	v_and_b32_e32 v20, v20, v23
	v_and_b32_e32 v41, v41, v22
	v_lshlrev_b32_e32 v23, 28, v40
	v_mov_b32_e32 v22, v21
	v_cmp_gt_i64_e64 s[12:13], 0, v[22:23]
	v_not_b32_e32 v22, v23
	v_ashrrev_i32_e32 v22, 31, v22
	;; [unrolled: 9-line block ×5, first 2 shown]
	v_xor_b32_e32 v23, s13, v22
	v_xor_b32_e32 v22, s12, v22
	v_and_b32_e32 v20, v20, v23
	v_lshlrev_b32_e32 v23, 24, v40
	v_and_b32_e32 v41, v41, v22
	v_mov_b32_e32 v22, v21
	v_not_b32_e32 v21, v23
	v_cmp_gt_i64_e64 s[12:13], 0, v[22:23]
	v_ashrrev_i32_e32 v21, 31, v21
	ds_read_b32 v32, v39 offset:64
	v_xor_b32_e32 v22, s13, v21
	v_xor_b32_e32 v23, s12, v21
	v_and_b32_e32 v21, v20, v22
	v_and_b32_e32 v20, v41, v23
	v_mbcnt_lo_u32_b32 v22, v20, 0
	v_mbcnt_hi_u32_b32 v40, v21, v22
	v_cmp_eq_u32_e64 s[12:13], 0, v40
	v_cmp_ne_u64_e64 s[14:15], 0, v[20:21]
	v_add_u32_e32 v38, 64, v3
	s_and_b64 s[14:15], s[14:15], s[12:13]
	; wave barrier
	s_and_saveexec_b64 s[12:13], s[14:15]
	s_cbranch_execz .LBB25_25
; %bb.24:
	v_bcnt_u32_b32 v20, v20, 0
	v_bcnt_u32_b32 v20, v21, v20
	s_waitcnt lgkmcnt(0)
	v_add_u32_e32 v20, v32, v20
	ds_write_b32 v39, v20 offset:64
.LBB25_25:
	s_or_b64 exec, exec, s[12:13]
	; wave barrier
	s_waitcnt lgkmcnt(0)
	s_barrier
	ds_read2_b32 v[22:23], v3 offset0:16 offset1:17
	ds_read2_b32 v[20:21], v38 offset0:2 offset1:3
	ds_read_b32 v41, v38 offset:16
	v_cmp_lt_u32_e64 s[20:21], 31, v4
	s_waitcnt lgkmcnt(1)
	v_add3_u32 v42, v23, v22, v20
	s_waitcnt lgkmcnt(0)
	v_add3_u32 v41, v42, v21, v41
	v_and_b32_e32 v42, 15, v4
	v_cmp_eq_u32_e64 s[12:13], 0, v42
	v_mov_b32_dpp v43, v41 row_shr:1 row_mask:0xf bank_mask:0xf
	v_cmp_lt_u32_e64 s[14:15], 1, v42
	v_cndmask_b32_e64 v43, v43, 0, s[12:13]
	v_add_u32_e32 v41, v43, v41
	v_cmp_lt_u32_e64 s[16:17], 3, v42
	v_cmp_lt_u32_e64 s[18:19], 7, v42
	v_mov_b32_dpp v43, v41 row_shr:2 row_mask:0xf bank_mask:0xf
	v_cndmask_b32_e64 v43, 0, v43, s[14:15]
	v_add_u32_e32 v41, v41, v43
	s_nop 1
	v_mov_b32_dpp v43, v41 row_shr:4 row_mask:0xf bank_mask:0xf
	v_cndmask_b32_e64 v43, 0, v43, s[16:17]
	v_add_u32_e32 v41, v41, v43
	s_nop 1
	v_mov_b32_dpp v43, v41 row_shr:8 row_mask:0xf bank_mask:0xf
	v_cndmask_b32_e64 v42, 0, v43, s[18:19]
	v_add_u32_e32 v41, v41, v42
	v_bfe_i32 v43, v4, 4, 1
	s_nop 0
	v_mov_b32_dpp v42, v41 row_bcast:15 row_mask:0xf bank_mask:0xf
	v_and_b32_e32 v42, v43, v42
	v_add_u32_e32 v41, v41, v42
	v_and_b32_e32 v43, 63, v2
	s_nop 0
	v_mov_b32_dpp v42, v41 row_bcast:31 row_mask:0xf bank_mask:0xf
	v_cndmask_b32_e64 v42, 0, v42, s[20:21]
	v_add_u32_e32 v41, v41, v42
	v_lshrrev_b32_e32 v42, 6, v2
	v_cmp_eq_u32_e64 s[20:21], 63, v43
	s_and_saveexec_b64 s[22:23], s[20:21]
	s_cbranch_execz .LBB25_27
; %bb.26:
	v_lshlrev_b32_e32 v43, 2, v42
	ds_write_b32 v43, v41
.LBB25_27:
	s_or_b64 exec, exec, s[22:23]
	v_cmp_gt_u32_e64 s[20:21], 16, v2
	s_waitcnt lgkmcnt(0)
	s_barrier
	s_and_saveexec_b64 s[22:23], s[20:21]
	s_cbranch_execz .LBB25_29
; %bb.28:
	v_lshlrev_b32_e32 v43, 2, v2
	ds_read_b32 v44, v43
	s_waitcnt lgkmcnt(0)
	s_nop 0
	v_mov_b32_dpp v45, v44 row_shr:1 row_mask:0xf bank_mask:0xf
	v_cndmask_b32_e64 v45, v45, 0, s[12:13]
	v_add_u32_e32 v44, v45, v44
	s_nop 1
	v_mov_b32_dpp v45, v44 row_shr:2 row_mask:0xf bank_mask:0xf
	v_cndmask_b32_e64 v45, 0, v45, s[14:15]
	v_add_u32_e32 v44, v44, v45
	;; [unrolled: 4-line block ×4, first 2 shown]
	ds_write_b32 v43, v44
.LBB25_29:
	s_or_b64 exec, exec, s[22:23]
	v_cmp_lt_u32_e64 s[12:13], 63, v2
	v_mov_b32_e32 v43, 0
	s_waitcnt lgkmcnt(0)
	s_barrier
	s_and_saveexec_b64 s[14:15], s[12:13]
	s_cbranch_execz .LBB25_31
; %bb.30:
	v_lshl_add_u32 v42, v42, 2, -4
	ds_read_b32 v43, v42
.LBB25_31:
	s_or_b64 exec, exec, s[14:15]
	v_add_u32_e32 v42, -1, v4
	v_and_b32_e32 v44, 64, v4
	v_cmp_lt_i32_e64 s[12:13], v42, v44
	s_waitcnt lgkmcnt(0)
	v_add_u32_e32 v41, v43, v41
	v_cndmask_b32_e64 v42, v42, v4, s[12:13]
	v_lshlrev_b32_e32 v42, 2, v42
	ds_bpermute_b32 v41, v42, v41
	v_cmp_eq_u32_e64 s[12:13], 0, v4
	s_waitcnt lgkmcnt(0)
	s_nop 0
	v_cndmask_b32_e64 v41, v41, v43, s[12:13]
	v_cmp_ne_u32_e64 s[12:13], 0, v2
	s_nop 1
	v_cndmask_b32_e64 v41, 0, v41, s[12:13]
	v_add_u32_e32 v22, v41, v22
	v_add_u32_e32 v23, v22, v23
	;; [unrolled: 1-line block ×4, first 2 shown]
	ds_write2_b32 v3, v41, v22 offset0:16 offset1:17
	ds_write2_b32 v38, v23, v20 offset0:2 offset1:3
	ds_write_b32 v38, v21 offset:16
	s_waitcnt lgkmcnt(0)
	s_barrier
	ds_read_b32 v3, v7 offset:64
	ds_read_b32 v23, v26 offset:64
	;; [unrolled: 1-line block ×6, first 2 shown]
	s_movk_i32 s12, 0x100
	v_cmp_gt_u32_e64 s[12:13], s12, v2
	v_mov_b64_e32 v[20:21], 0
                                        ; implicit-def: $vgpr22
	s_and_saveexec_b64 s[16:17], s[12:13]
	s_cbranch_execz .LBB25_35
; %bb.32:
	v_mul_u32_u24_e32 v7, 17, v2
	v_lshlrev_b32_e32 v21, 2, v7
	ds_read_b32 v20, v21 offset:64
	s_movk_i32 s14, 0xff
	v_cmp_ne_u32_e64 s[14:15], s14, v2
	v_mov_b32_e32 v7, 0x1800
	s_and_saveexec_b64 s[18:19], s[14:15]
	s_cbranch_execz .LBB25_34
; %bb.33:
	ds_read_b32 v7, v21 offset:132
.LBB25_34:
	s_or_b64 exec, exec, s[18:19]
	s_waitcnt lgkmcnt(0)
	v_sub_u32_e32 v22, v7, v20
	v_mov_b32_e32 v21, 0
.LBB25_35:
	s_or_b64 exec, exec, s[16:17]
	s_waitcnt lgkmcnt(5)
	v_add_u32_e32 v3, v3, v24
	s_waitcnt lgkmcnt(4)
	v_add3_u32 v23, v27, v25, v23
	s_waitcnt lgkmcnt(3)
	v_add3_u32 v24, v30, v28, v26
	v_lshlrev_b32_e32 v28, 3, v3
	s_waitcnt lgkmcnt(0)
	s_barrier
	ds_write_b64 v28, v[8:9] offset:2048
	v_lshlrev_b32_e32 v8, 3, v23
	v_add3_u32 v25, v34, v31, v29
	ds_write_b64 v8, v[10:11] offset:2048
	v_lshlrev_b32_e32 v8, 3, v24
	v_add3_u32 v26, v37, v35, v33
	;; [unrolled: 3-line block ×3, first 2 shown]
	ds_write_b64 v8, v[14:15] offset:2048
	v_lshlrev_b32_e32 v8, 3, v26
	v_mov_b32_e32 v7, v5
	ds_write_b64 v8, v[16:17] offset:2048
	v_lshlrev_b32_e32 v8, 3, v27
	ds_write_b64 v8, v[18:19] offset:2048
	s_waitcnt lgkmcnt(0)
	s_barrier
	s_and_saveexec_b64 s[16:17], s[12:13]
	s_cbranch_execz .LBB25_45
; %bb.36:
	v_lshl_or_b32 v10, s2, 8, v2
	v_mov_b32_e32 v11, 0
	v_lshl_add_u64 v[8:9], v[10:11], 2, s[48:49]
	v_or_b32_e32 v10, 2.0, v22
	s_mov_b64 s[18:19], 0
	s_brev_b32 s24, 1
	s_mov_b32 s25, s2
	v_mov_b32_e32 v14, 0
	global_store_dword v[8:9], v10, off sc1
                                        ; implicit-def: $sgpr14_sgpr15
	s_branch .LBB25_38
.LBB25_37:                              ;   in Loop: Header=BB25_38 Depth=1
	s_or_b64 exec, exec, s[20:21]
	v_and_b32_e32 v12, 0x3fffffff, v15
	v_add_u32_e32 v14, v12, v14
	v_cmp_eq_u32_e64 s[14:15], s24, v10
	s_and_b64 s[20:21], exec, s[14:15]
	s_or_b64 s[18:19], s[20:21], s[18:19]
	s_andn2_b64 exec, exec, s[18:19]
	s_cbranch_execz .LBB25_44
.LBB25_38:                              ; =>This Loop Header: Depth=1
                                        ;     Child Loop BB25_41 Depth 2
	s_or_b64 s[14:15], s[14:15], exec
	s_cmp_eq_u32 s25, 0
	s_cbranch_scc1 .LBB25_43
; %bb.39:                               ;   in Loop: Header=BB25_38 Depth=1
	s_add_i32 s25, s25, -1
	v_lshl_or_b32 v10, s25, 8, v2
	v_lshl_add_u64 v[12:13], v[10:11], 2, s[48:49]
	global_load_dword v15, v[12:13], off sc1
	s_waitcnt vmcnt(0)
	v_and_b32_e32 v10, -2.0, v15
	v_cmp_eq_u32_e64 s[14:15], 0, v10
	s_and_saveexec_b64 s[20:21], s[14:15]
	s_cbranch_execz .LBB25_37
; %bb.40:                               ;   in Loop: Header=BB25_38 Depth=1
	s_mov_b64 s[22:23], 0
.LBB25_41:                              ;   Parent Loop BB25_38 Depth=1
                                        ; =>  This Inner Loop Header: Depth=2
	global_load_dword v15, v[12:13], off sc1
	s_waitcnt vmcnt(0)
	v_and_b32_e32 v10, -2.0, v15
	v_cmp_ne_u32_e64 s[14:15], 0, v10
	s_or_b64 s[22:23], s[14:15], s[22:23]
	s_andn2_b64 exec, exec, s[22:23]
	s_cbranch_execnz .LBB25_41
; %bb.42:                               ;   in Loop: Header=BB25_38 Depth=1
	s_or_b64 exec, exec, s[22:23]
	s_branch .LBB25_37
.LBB25_43:                              ;   in Loop: Header=BB25_38 Depth=1
                                        ; implicit-def: $sgpr25
	s_and_b64 s[20:21], exec, s[14:15]
	s_or_b64 s[18:19], s[20:21], s[18:19]
	s_andn2_b64 exec, exec, s[18:19]
	s_cbranch_execnz .LBB25_38
.LBB25_44:
	s_or_b64 exec, exec, s[18:19]
	v_add_u32_e32 v10, v14, v22
	v_or_b32_e32 v10, 0x80000000, v10
	global_store_dword v[8:9], v10, off sc1
	v_lshlrev_b32_e32 v12, 3, v2
	global_load_dwordx2 v[8:9], v12, s[28:29]
	v_sub_co_u32_e64 v10, s[14:15], v14, v20
	s_nop 1
	v_subb_co_u32_e64 v11, s[14:15], 0, v21, s[14:15]
	s_waitcnt vmcnt(0)
	v_lshl_add_u64 v[8:9], v[10:11], 0, v[8:9]
	ds_write_b64 v12, v[8:9]
.LBB25_45:
	s_or_b64 exec, exec, s[16:17]
	v_cmp_gt_u32_e64 s[14:15], s33, v2
	v_lshlrev_b32_e32 v10, 3, v2
	s_waitcnt lgkmcnt(0)
	s_barrier
	s_and_saveexec_b64 s[16:17], s[14:15]
	s_cbranch_execz .LBB25_47
; %bb.46:
	ds_read_b64 v[8:9], v10 offset:2048
	s_waitcnt lgkmcnt(0)
	v_lshrrev_b64 v[12:13], s44, v[8:9]
	v_and_b32_e32 v11, s35, v12
	v_lshlrev_b32_e32 v11, 3, v11
	ds_read_b64 v[12:13], v11
	v_mov_b32_e32 v11, 0
	v_xor_b32_e32 v9, 0x80000000, v9
	s_waitcnt lgkmcnt(0)
	v_lshl_add_u64 v[12:13], v[12:13], 3, s[38:39]
	v_lshl_add_u64 v[12:13], v[12:13], 0, v[10:11]
	global_store_dwordx2 v[12:13], v[8:9], off
.LBB25_47:
	s_or_b64 exec, exec, s[16:17]
	v_or_b32_e32 v8, 0x400, v2
	v_cmp_gt_u32_e64 s[16:17], s33, v8
	s_and_saveexec_b64 s[18:19], s[16:17]
	s_cbranch_execz .LBB25_49
; %bb.48:
	ds_read_b64 v[12:13], v10 offset:10240
	v_lshlrev_b32_e32 v8, 3, v8
	s_waitcnt lgkmcnt(0)
	v_lshrrev_b64 v[14:15], s44, v[12:13]
	v_and_b32_e32 v9, s35, v14
	v_lshlrev_b32_e32 v9, 3, v9
	ds_read_b64 v[14:15], v9
	v_mov_b32_e32 v9, 0
	v_xor_b32_e32 v13, 0x80000000, v13
	s_waitcnt lgkmcnt(0)
	v_lshl_add_u64 v[14:15], v[14:15], 3, s[38:39]
	v_lshl_add_u64 v[8:9], v[14:15], 0, v[8:9]
	global_store_dwordx2 v[8:9], v[12:13], off
.LBB25_49:
	s_or_b64 exec, exec, s[18:19]
	v_or_b32_e32 v8, 0x800, v2
	v_cmp_gt_u32_e64 s[18:19], s33, v8
	s_and_saveexec_b64 s[20:21], s[18:19]
	s_cbranch_execz .LBB25_51
; %bb.50:
	ds_read_b64 v[12:13], v10 offset:18432
	v_lshlrev_b32_e32 v8, 3, v8
	s_waitcnt lgkmcnt(0)
	v_lshrrev_b64 v[14:15], s44, v[12:13]
	v_and_b32_e32 v9, s35, v14
	v_lshlrev_b32_e32 v9, 3, v9
	ds_read_b64 v[14:15], v9
	v_mov_b32_e32 v9, 0
	v_xor_b32_e32 v13, 0x80000000, v13
	s_waitcnt lgkmcnt(0)
	v_lshl_add_u64 v[14:15], v[14:15], 3, s[38:39]
	v_lshl_add_u64 v[8:9], v[14:15], 0, v[8:9]
	global_store_dwordx2 v[8:9], v[12:13], off
.LBB25_51:
	;; [unrolled: 20-line block ×3, first 2 shown]
	s_or_b64 exec, exec, s[22:23]
	v_or_b32_e32 v8, 0x1000, v2
	v_cmp_gt_u32_e64 s[22:23], s33, v8
	s_and_saveexec_b64 s[24:25], s[22:23]
	s_cbranch_execz .LBB25_55
; %bb.54:
	ds_read_b64 v[12:13], v10 offset:34816
	v_lshlrev_b32_e32 v16, 3, v8
	v_mov_b32_e32 v17, 0
	s_waitcnt lgkmcnt(0)
	v_lshrrev_b64 v[14:15], s44, v[12:13]
	v_and_b32_e32 v9, s35, v14
	v_lshlrev_b32_e32 v9, 3, v9
	ds_read_b64 v[14:15], v9
	v_xor_b32_e32 v13, 0x80000000, v13
	s_waitcnt lgkmcnt(0)
	v_lshl_add_u64 v[14:15], v[14:15], 3, s[38:39]
	v_lshl_add_u64 v[14:15], v[14:15], 0, v[16:17]
	global_store_dwordx2 v[14:15], v[12:13], off
.LBB25_55:
	s_or_b64 exec, exec, s[24:25]
	v_or_b32_e32 v12, 0x1400, v2
	v_cmp_gt_u32_e64 s[24:25], s33, v12
	s_and_saveexec_b64 s[46:47], s[24:25]
	s_cbranch_execz .LBB25_57
; %bb.56:
	ds_read_b64 v[14:15], v10 offset:43008
	v_lshlrev_b32_e32 v18, 3, v12
	v_mov_b32_e32 v19, 0
	s_waitcnt lgkmcnt(0)
	v_lshrrev_b64 v[16:17], s44, v[14:15]
	v_and_b32_e32 v9, s35, v16
	v_lshlrev_b32_e32 v9, 3, v9
	ds_read_b64 v[16:17], v9
	v_xor_b32_e32 v15, 0x80000000, v15
	s_waitcnt lgkmcnt(0)
	v_lshl_add_u64 v[16:17], v[16:17], 3, s[38:39]
	v_lshl_add_u64 v[16:17], v[16:17], 0, v[18:19]
	global_store_dwordx2 v[16:17], v[14:15], off
.LBB25_57:
	s_or_b64 exec, exec, s[46:47]
	s_add_u32 s46, s40, s34
	s_addc_u32 s47, s41, 0
	v_lshl_add_u64 v[4:5], s[46:47], 0, v[4:5]
	v_lshl_add_u64 v[4:5], v[4:5], 0, v[6:7]
                                        ; implicit-def: $vgpr6
	s_and_saveexec_b64 s[46:47], vcc
	s_xor_b64 s[46:47], exec, s[46:47]
	s_cbranch_execnz .LBB25_127
; %bb.58:
	s_or_b64 exec, exec, s[46:47]
                                        ; implicit-def: $vgpr7
	s_and_saveexec_b64 s[46:47], s[26:27]
	s_cbranch_execnz .LBB25_128
.LBB25_59:
	s_or_b64 exec, exec, s[46:47]
                                        ; implicit-def: $vgpr9
	s_and_saveexec_b64 s[26:27], s[4:5]
	s_cbranch_execnz .LBB25_129
.LBB25_60:
	s_or_b64 exec, exec, s[26:27]
                                        ; implicit-def: $vgpr11
	s_and_saveexec_b64 s[4:5], s[6:7]
	s_cbranch_execnz .LBB25_130
.LBB25_61:
	s_or_b64 exec, exec, s[4:5]
                                        ; implicit-def: $vgpr15
	s_and_saveexec_b64 s[4:5], s[8:9]
	s_cbranch_execnz .LBB25_131
.LBB25_62:
	s_or_b64 exec, exec, s[4:5]
                                        ; implicit-def: $vgpr17
	s_and_saveexec_b64 s[4:5], s[10:11]
	s_cbranch_execz .LBB25_64
.LBB25_63:
	global_load_ubyte v17, v[4:5], off offset:320
.LBB25_64:
	s_or_b64 exec, exec, s[4:5]
	v_mov_b32_e32 v13, 0
	v_mov_b32_e32 v18, 0
	s_and_saveexec_b64 s[4:5], s[14:15]
	s_cbranch_execz .LBB25_66
; %bb.65:
	ds_read_b64 v[4:5], v10 offset:2048
	s_waitcnt lgkmcnt(0)
	v_lshrrev_b64 v[4:5], s44, v[4:5]
	v_and_b32_e32 v18, s35, v4
.LBB25_66:
	s_or_b64 exec, exec, s[4:5]
	s_and_saveexec_b64 s[4:5], s[16:17]
	s_cbranch_execz .LBB25_68
; %bb.67:
	ds_read_b64 v[4:5], v10 offset:10240
	s_waitcnt lgkmcnt(0)
	v_lshrrev_b64 v[4:5], s44, v[4:5]
	v_and_b32_e32 v13, s35, v4
.LBB25_68:
	s_or_b64 exec, exec, s[4:5]
	v_mov_b32_e32 v5, 0
	v_mov_b32_e32 v16, 0
	s_and_saveexec_b64 s[4:5], s[18:19]
	s_cbranch_execz .LBB25_70
; %bb.69:
	ds_read_b64 v[28:29], v10 offset:18432
	s_waitcnt lgkmcnt(0)
	v_lshrrev_b64 v[28:29], s44, v[28:29]
	v_and_b32_e32 v16, s35, v28
.LBB25_70:
	s_or_b64 exec, exec, s[4:5]
	s_and_saveexec_b64 s[4:5], s[20:21]
	s_cbranch_execz .LBB25_72
; %bb.71:
	ds_read_b64 v[4:5], v10 offset:26624
	s_waitcnt lgkmcnt(0)
	v_lshrrev_b64 v[4:5], s44, v[4:5]
	v_and_b32_e32 v5, s35, v4
.LBB25_72:
	s_or_b64 exec, exec, s[4:5]
	v_mov_b32_e32 v4, 0
	v_mov_b32_e32 v14, 0
	s_and_saveexec_b64 s[4:5], s[22:23]
	s_cbranch_execz .LBB25_74
; %bb.73:
	ds_read_b64 v[28:29], v10 offset:34816
	s_waitcnt lgkmcnt(0)
	v_lshrrev_b64 v[28:29], s44, v[28:29]
	v_and_b32_e32 v14, s35, v28
.LBB25_74:
	s_or_b64 exec, exec, s[4:5]
	s_and_saveexec_b64 s[4:5], s[24:25]
	s_cbranch_execz .LBB25_76
; %bb.75:
	ds_read_b64 v[28:29], v10 offset:43008
	s_waitcnt lgkmcnt(0)
	v_lshrrev_b64 v[28:29], s44, v[28:29]
	v_and_b32_e32 v4, s35, v28
.LBB25_76:
	s_or_b64 exec, exec, s[4:5]
	s_barrier
	s_waitcnt vmcnt(0)
	ds_write_b8 v3, v6 offset:2048
	ds_write_b8 v23, v7 offset:2048
	ds_write_b8 v24, v9 offset:2048
	ds_write_b8 v25, v11 offset:2048
	ds_write_b8 v26, v15 offset:2048
	ds_write_b8 v27, v17 offset:2048
	s_waitcnt lgkmcnt(0)
	s_barrier
	s_and_saveexec_b64 s[4:5], s[14:15]
	s_cbranch_execnz .LBB25_132
; %bb.77:
	s_or_b64 exec, exec, s[4:5]
	s_and_saveexec_b64 s[4:5], s[16:17]
	s_cbranch_execnz .LBB25_133
.LBB25_78:
	s_or_b64 exec, exec, s[4:5]
	s_and_saveexec_b64 s[4:5], s[18:19]
	s_cbranch_execnz .LBB25_134
.LBB25_79:
	s_or_b64 exec, exec, s[4:5]
	s_and_saveexec_b64 s[4:5], s[20:21]
	s_cbranch_execnz .LBB25_135
.LBB25_80:
	s_or_b64 exec, exec, s[4:5]
	s_and_saveexec_b64 s[4:5], s[22:23]
	s_cbranch_execnz .LBB25_136
.LBB25_81:
	s_or_b64 exec, exec, s[4:5]
	s_and_saveexec_b64 s[4:5], s[24:25]
	s_cbranch_execz .LBB25_83
.LBB25_82:
	v_lshlrev_b32_e32 v3, 3, v4
	ds_read_b64 v[4:5], v3
	ds_read_u8 v3, v2 offset:7168
	v_mov_b32_e32 v13, 0
	s_waitcnt lgkmcnt(1)
	v_lshl_add_u64 v[4:5], s[42:43], 0, v[4:5]
	v_lshl_add_u64 v[4:5], v[4:5], 0, v[12:13]
	s_waitcnt lgkmcnt(0)
	global_store_byte v[4:5], v3, off
.LBB25_83:
	s_or_b64 exec, exec, s[4:5]
	s_add_i32 s3, s3, -1
	s_cmp_eq_u32 s2, s3
	s_cselect_b64 s[4:5], -1, 0
	s_and_b64 s[6:7], s[12:13], s[4:5]
	s_mov_b64 s[4:5], 0
	s_mov_b64 s[10:11], 0
                                        ; implicit-def: $vgpr4_vgpr5
	s_and_saveexec_b64 s[8:9], s[6:7]
	s_xor_b64 s[6:7], exec, s[8:9]
; %bb.84:
	v_mov_b32_e32 v23, 0
	s_mov_b64 s[10:11], exec
	v_lshl_add_u64 v[4:5], v[20:21], 0, v[22:23]
	v_mov_b32_e32 v3, v23
; %bb.85:
	s_or_b64 exec, exec, s[6:7]
	s_and_b64 vcc, exec, s[4:5]
	s_cbranch_vccnz .LBB25_87
	s_branch .LBB25_124
.LBB25_86:
	s_mov_b64 s[10:11], 0
                                        ; implicit-def: $vgpr4_vgpr5
                                        ; implicit-def: $vgpr2_vgpr3
	s_cbranch_execz .LBB25_124
.LBB25_87:
	s_mov_b32 s35, 0
	v_and_b32_e32 v2, 0x3ff, v0
	s_lshl_b64 s[4:5], s[34:35], 3
	s_add_u32 s4, s36, s4
	v_mov_b32_e32 v5, 0
	v_mbcnt_hi_u32_b32 v4, -1, v1
	v_and_b32_e32 v1, 0x3c0, v2
	s_addc_u32 s5, s37, s5
	v_mul_u32_u24_e32 v6, 6, v1
	v_lshlrev_b32_e32 v8, 3, v4
	v_mov_b32_e32 v9, v5
	v_lshl_add_u64 v[8:9], s[4:5], 0, v[8:9]
	v_lshlrev_b32_e32 v10, 3, v6
	v_mov_b32_e32 v11, v5
	v_lshl_add_u64 v[18:19], v[8:9], 0, v[10:11]
	global_load_dwordx2 v[8:9], v[18:19], off
	s_load_dword s4, s[0:1], 0x5c
	s_load_dword s3, s[0:1], 0x50
	s_add_u32 s0, s0, 0x50
	s_addc_u32 s1, s1, 0
	v_bfe_u32 v20, v0, 10, 10
	s_waitcnt lgkmcnt(0)
	s_lshr_b32 s4, s4, 16
	s_cmp_lt_u32 s2, s3
	s_cselect_b32 s5, 12, 18
	s_add_u32 s0, s0, s5
	s_addc_u32 s1, s1, 0
	global_load_ushort v7, v5, s[0:1]
	v_bfe_u32 v23, v0, 20, 10
	v_mul_u32_u24_e32 v0, 5, v2
	v_lshlrev_b32_e32 v3, 2, v0
	ds_write2_b32 v3, v5, v5 offset0:16 offset1:17
	ds_write2_b32 v3, v5, v5 offset0:18 offset1:19
	ds_write_b32 v3, v5 offset:80
	global_load_dwordx2 v[16:17], v[18:19], off offset:512
	global_load_dwordx2 v[14:15], v[18:19], off offset:1024
	;; [unrolled: 1-line block ×5, first 2 shown]
	s_lshl_b32 s0, -1, s45
	s_not_b32 s14, s0
	v_mov_b32_e32 v21, v5
	v_mad_u32_u24 v30, v23, s4, v20
	v_mov_b32_e32 v22, v5
	v_mov_b32_e32 v24, v5
	;; [unrolled: 1-line block ×4, first 2 shown]
	s_waitcnt lgkmcnt(0)
	s_barrier
	s_waitcnt lgkmcnt(0)
	; wave barrier
	s_waitcnt vmcnt(6)
	v_xor_b32_e32 v9, 0x80000000, v9
	v_lshrrev_b64 v[18:19], s44, v[8:9]
	v_and_b32_e32 v34, s14, v18
	v_and_b32_e32 v20, 1, v34
	v_lshlrev_b32_e32 v23, 30, v34
	v_lshlrev_b32_e32 v25, 29, v34
	;; [unrolled: 1-line block ×3, first 2 shown]
	v_lshl_add_u64 v[32:33], v[20:21], 0, -1
	v_cmp_ne_u32_e32 vcc, 0, v20
	v_lshl_add_u32 v18, v34, 4, v34
	s_waitcnt vmcnt(5)
	v_mad_u64_u32 v[30:31], s[0:1], v30, v7, v[2:3]
	v_not_b32_e32 v7, v23
	v_lshlrev_b32_e32 v27, 28, v34
	v_cmp_gt_i64_e64 s[0:1], 0, v[22:23]
	v_cmp_gt_i64_e64 s[4:5], 0, v[24:25]
	v_not_b32_e32 v20, v25
	v_cmp_gt_i64_e64 s[8:9], 0, v[28:29]
	v_lshrrev_b32_e32 v28, 6, v30
	v_xor_b32_e32 v23, vcc_hi, v33
	v_xor_b32_e32 v24, vcc_lo, v32
	v_ashrrev_i32_e32 v25, 31, v7
	v_not_b32_e32 v21, v27
	v_ashrrev_i32_e32 v20, 31, v20
	v_add_lshl_u32 v7, v28, v18, 2
	v_and_b32_e32 v18, exec_hi, v23
	v_and_b32_e32 v23, exec_lo, v24
	v_xor_b32_e32 v24, s1, v25
	v_cmp_gt_i64_e64 s[6:7], 0, v[26:27]
	v_not_b32_e32 v22, v29
	v_ashrrev_i32_e32 v21, 31, v21
	v_xor_b32_e32 v25, s0, v25
	v_xor_b32_e32 v26, s5, v20
	v_and_b32_e32 v18, v18, v24
	v_ashrrev_i32_e32 v22, 31, v22
	v_xor_b32_e32 v20, s4, v20
	v_xor_b32_e32 v27, s7, v21
	v_and_b32_e32 v23, v23, v25
	v_and_b32_e32 v18, v18, v26
	v_xor_b32_e32 v21, s6, v21
	v_xor_b32_e32 v29, s9, v22
	v_and_b32_e32 v20, v23, v20
	v_and_b32_e32 v18, v18, v27
	v_lshlrev_b32_e32 v19, 26, v34
	v_and_b32_e32 v20, v20, v21
	v_and_b32_e32 v21, v18, v29
	v_mov_b32_e32 v18, v5
	v_cmp_gt_i64_e32 vcc, 0, v[18:19]
	v_not_b32_e32 v18, v19
	v_xor_b32_e32 v22, s8, v22
	v_ashrrev_i32_e32 v18, 31, v18
	v_and_b32_e32 v20, v20, v22
	v_xor_b32_e32 v19, vcc_hi, v18
	v_xor_b32_e32 v18, vcc_lo, v18
	v_and_b32_e32 v21, v21, v19
	v_and_b32_e32 v20, v20, v18
	v_lshlrev_b32_e32 v19, 25, v34
	v_mov_b32_e32 v18, v5
	v_cmp_gt_i64_e32 vcc, 0, v[18:19]
	v_not_b32_e32 v18, v19
	v_ashrrev_i32_e32 v18, 31, v18
	v_xor_b32_e32 v19, vcc_hi, v18
	v_xor_b32_e32 v18, vcc_lo, v18
	v_and_b32_e32 v21, v21, v19
	v_and_b32_e32 v20, v20, v18
	v_lshlrev_b32_e32 v19, 24, v34
	v_mov_b32_e32 v18, v5
	v_cmp_gt_i64_e32 vcc, 0, v[18:19]
	v_not_b32_e32 v18, v19
	v_ashrrev_i32_e32 v18, 31, v18
	v_xor_b32_e32 v19, vcc_hi, v18
	v_xor_b32_e32 v18, vcc_lo, v18
	v_and_b32_e32 v18, v20, v18
	v_and_b32_e32 v19, v21, v19
	v_mbcnt_lo_u32_b32 v20, v18, 0
	v_mbcnt_hi_u32_b32 v22, v19, v20
	v_cmp_eq_u32_e32 vcc, 0, v22
	v_cmp_ne_u64_e64 s[0:1], 0, v[18:19]
	s_and_b64 s[4:5], s[0:1], vcc
	s_and_saveexec_b64 s[0:1], s[4:5]
	s_cbranch_execz .LBB25_89
; %bb.88:
	v_bcnt_u32_b32 v18, v18, 0
	v_bcnt_u32_b32 v18, v19, v18
	ds_write_b32 v7, v18 offset:64
.LBB25_89:
	s_or_b64 exec, exec, s[0:1]
	s_waitcnt vmcnt(4)
	v_xor_b32_e32 v17, 0x80000000, v17
	v_lshrrev_b64 v[18:19], s44, v[16:17]
	v_and_b32_e32 v25, s14, v18
	v_lshl_add_u32 v18, v25, 4, v25
	v_add_lshl_u32 v24, v28, v18, 2
	v_and_b32_e32 v18, 1, v25
	v_mov_b32_e32 v19, v5
	v_lshl_add_u64 v[20:21], v[18:19], 0, -1
	v_cmp_ne_u32_e32 vcc, 0, v18
	; wave barrier
	s_nop 1
	v_xor_b32_e32 v18, vcc_hi, v21
	v_xor_b32_e32 v19, vcc_lo, v20
	v_and_b32_e32 v20, exec_hi, v18
	v_and_b32_e32 v21, exec_lo, v19
	v_lshlrev_b32_e32 v19, 30, v25
	v_mov_b32_e32 v18, v5
	v_cmp_gt_i64_e32 vcc, 0, v[18:19]
	v_not_b32_e32 v18, v19
	v_ashrrev_i32_e32 v18, 31, v18
	v_xor_b32_e32 v19, vcc_hi, v18
	v_xor_b32_e32 v18, vcc_lo, v18
	v_and_b32_e32 v20, v20, v19
	v_and_b32_e32 v21, v21, v18
	v_lshlrev_b32_e32 v19, 29, v25
	v_mov_b32_e32 v18, v5
	v_cmp_gt_i64_e32 vcc, 0, v[18:19]
	v_not_b32_e32 v18, v19
	v_ashrrev_i32_e32 v18, 31, v18
	v_xor_b32_e32 v19, vcc_hi, v18
	v_xor_b32_e32 v18, vcc_lo, v18
	v_and_b32_e32 v20, v20, v19
	v_and_b32_e32 v21, v21, v18
	;; [unrolled: 9-line block ×6, first 2 shown]
	v_lshlrev_b32_e32 v19, 24, v25
	v_mov_b32_e32 v18, v5
	v_cmp_gt_i64_e32 vcc, 0, v[18:19]
	v_not_b32_e32 v18, v19
	v_ashrrev_i32_e32 v18, 31, v18
	v_xor_b32_e32 v19, vcc_hi, v18
	v_xor_b32_e32 v18, vcc_lo, v18
	ds_read_b32 v23, v24 offset:64
	v_and_b32_e32 v18, v21, v18
	v_and_b32_e32 v19, v20, v19
	v_mbcnt_lo_u32_b32 v20, v18, 0
	v_mbcnt_hi_u32_b32 v25, v19, v20
	v_cmp_eq_u32_e32 vcc, 0, v25
	v_cmp_ne_u64_e64 s[0:1], 0, v[18:19]
	s_and_b64 s[4:5], s[0:1], vcc
	; wave barrier
	s_and_saveexec_b64 s[0:1], s[4:5]
	s_cbranch_execz .LBB25_91
; %bb.90:
	v_bcnt_u32_b32 v18, v18, 0
	v_bcnt_u32_b32 v18, v19, v18
	s_waitcnt lgkmcnt(0)
	v_add_u32_e32 v18, v23, v18
	ds_write_b32 v24, v18 offset:64
.LBB25_91:
	s_or_b64 exec, exec, s[0:1]
	s_waitcnt vmcnt(3)
	v_xor_b32_e32 v15, 0x80000000, v15
	v_lshrrev_b64 v[18:19], s44, v[14:15]
	v_and_b32_e32 v29, s14, v18
	v_lshl_add_u32 v18, v29, 4, v29
	v_add_lshl_u32 v27, v28, v18, 2
	v_and_b32_e32 v18, 1, v29
	v_mov_b32_e32 v19, 0
	v_lshl_add_u64 v[20:21], v[18:19], 0, -1
	v_cmp_ne_u32_e32 vcc, 0, v18
	; wave barrier
	s_nop 1
	v_xor_b32_e32 v20, vcc_lo, v20
	v_xor_b32_e32 v18, vcc_hi, v21
	v_and_b32_e32 v30, exec_lo, v20
	v_lshlrev_b32_e32 v21, 30, v29
	v_mov_b32_e32 v20, v19
	v_cmp_gt_i64_e32 vcc, 0, v[20:21]
	v_not_b32_e32 v20, v21
	v_ashrrev_i32_e32 v20, 31, v20
	v_and_b32_e32 v18, exec_hi, v18
	v_xor_b32_e32 v21, vcc_hi, v20
	v_xor_b32_e32 v20, vcc_lo, v20
	v_and_b32_e32 v18, v18, v21
	v_and_b32_e32 v30, v30, v20
	v_lshlrev_b32_e32 v21, 29, v29
	v_mov_b32_e32 v20, v19
	v_cmp_gt_i64_e32 vcc, 0, v[20:21]
	v_not_b32_e32 v20, v21
	v_ashrrev_i32_e32 v20, 31, v20
	v_xor_b32_e32 v21, vcc_hi, v20
	v_xor_b32_e32 v20, vcc_lo, v20
	v_and_b32_e32 v18, v18, v21
	v_and_b32_e32 v30, v30, v20
	v_lshlrev_b32_e32 v21, 28, v29
	v_mov_b32_e32 v20, v19
	v_cmp_gt_i64_e32 vcc, 0, v[20:21]
	v_not_b32_e32 v20, v21
	v_ashrrev_i32_e32 v20, 31, v20
	;; [unrolled: 9-line block ×6, first 2 shown]
	v_xor_b32_e32 v21, vcc_hi, v20
	v_xor_b32_e32 v20, vcc_lo, v20
	ds_read_b32 v26, v27 offset:64
	v_and_b32_e32 v20, v30, v20
	v_and_b32_e32 v21, v18, v21
	v_mbcnt_lo_u32_b32 v18, v20, 0
	v_mbcnt_hi_u32_b32 v29, v21, v18
	v_cmp_eq_u32_e32 vcc, 0, v29
	v_cmp_ne_u64_e64 s[0:1], 0, v[20:21]
	s_and_b64 s[4:5], s[0:1], vcc
	; wave barrier
	s_and_saveexec_b64 s[0:1], s[4:5]
	s_cbranch_execz .LBB25_93
; %bb.92:
	v_bcnt_u32_b32 v18, v20, 0
	v_bcnt_u32_b32 v18, v21, v18
	s_waitcnt lgkmcnt(0)
	v_add_u32_e32 v18, v26, v18
	ds_write_b32 v27, v18 offset:64
.LBB25_93:
	s_or_b64 exec, exec, s[0:1]
	s_waitcnt vmcnt(2)
	v_xor_b32_e32 v13, 0x80000000, v13
	v_lshrrev_b64 v[20:21], s44, v[12:13]
	v_and_b32_e32 v32, s14, v20
	v_lshl_add_u32 v18, v32, 4, v32
	v_add_lshl_u32 v31, v28, v18, 2
	v_and_b32_e32 v18, 1, v32
	v_lshl_add_u64 v[20:21], v[18:19], 0, -1
	v_cmp_ne_u32_e32 vcc, 0, v18
	; wave barrier
	s_nop 1
	v_xor_b32_e32 v20, vcc_lo, v20
	v_xor_b32_e32 v18, vcc_hi, v21
	v_and_b32_e32 v33, exec_lo, v20
	v_lshlrev_b32_e32 v21, 30, v32
	v_mov_b32_e32 v20, v19
	v_cmp_gt_i64_e32 vcc, 0, v[20:21]
	v_not_b32_e32 v20, v21
	v_ashrrev_i32_e32 v20, 31, v20
	v_and_b32_e32 v18, exec_hi, v18
	v_xor_b32_e32 v21, vcc_hi, v20
	v_xor_b32_e32 v20, vcc_lo, v20
	v_and_b32_e32 v18, v18, v21
	v_and_b32_e32 v33, v33, v20
	v_lshlrev_b32_e32 v21, 29, v32
	v_mov_b32_e32 v20, v19
	v_cmp_gt_i64_e32 vcc, 0, v[20:21]
	v_not_b32_e32 v20, v21
	v_ashrrev_i32_e32 v20, 31, v20
	v_xor_b32_e32 v21, vcc_hi, v20
	v_xor_b32_e32 v20, vcc_lo, v20
	v_and_b32_e32 v18, v18, v21
	v_and_b32_e32 v33, v33, v20
	v_lshlrev_b32_e32 v21, 28, v32
	v_mov_b32_e32 v20, v19
	v_cmp_gt_i64_e32 vcc, 0, v[20:21]
	v_not_b32_e32 v20, v21
	v_ashrrev_i32_e32 v20, 31, v20
	v_xor_b32_e32 v21, vcc_hi, v20
	v_xor_b32_e32 v20, vcc_lo, v20
	v_and_b32_e32 v18, v18, v21
	v_and_b32_e32 v33, v33, v20
	v_lshlrev_b32_e32 v21, 27, v32
	v_mov_b32_e32 v20, v19
	v_cmp_gt_i64_e32 vcc, 0, v[20:21]
	v_not_b32_e32 v20, v21
	v_ashrrev_i32_e32 v20, 31, v20
	v_xor_b32_e32 v21, vcc_hi, v20
	v_xor_b32_e32 v20, vcc_lo, v20
	v_and_b32_e32 v18, v18, v21
	v_and_b32_e32 v33, v33, v20
	v_lshlrev_b32_e32 v21, 26, v32
	v_mov_b32_e32 v20, v19
	v_cmp_gt_i64_e32 vcc, 0, v[20:21]
	v_not_b32_e32 v20, v21
	v_ashrrev_i32_e32 v20, 31, v20
	v_xor_b32_e32 v21, vcc_hi, v20
	v_xor_b32_e32 v20, vcc_lo, v20
	v_and_b32_e32 v18, v18, v21
	v_and_b32_e32 v33, v33, v20
	v_lshlrev_b32_e32 v21, 25, v32
	v_mov_b32_e32 v20, v19
	v_cmp_gt_i64_e32 vcc, 0, v[20:21]
	v_not_b32_e32 v20, v21
	v_ashrrev_i32_e32 v20, 31, v20
	v_xor_b32_e32 v21, vcc_hi, v20
	v_xor_b32_e32 v20, vcc_lo, v20
	v_and_b32_e32 v18, v18, v21
	v_lshlrev_b32_e32 v21, 24, v32
	v_and_b32_e32 v33, v33, v20
	v_mov_b32_e32 v20, v19
	v_not_b32_e32 v19, v21
	v_cmp_gt_i64_e32 vcc, 0, v[20:21]
	v_ashrrev_i32_e32 v19, 31, v19
	ds_read_b32 v30, v31 offset:64
	v_xor_b32_e32 v20, vcc_hi, v19
	v_xor_b32_e32 v21, vcc_lo, v19
	v_and_b32_e32 v19, v18, v20
	v_and_b32_e32 v18, v33, v21
	v_mbcnt_lo_u32_b32 v20, v18, 0
	v_mbcnt_hi_u32_b32 v32, v19, v20
	v_cmp_eq_u32_e32 vcc, 0, v32
	v_cmp_ne_u64_e64 s[0:1], 0, v[18:19]
	s_and_b64 s[4:5], s[0:1], vcc
	; wave barrier
	s_and_saveexec_b64 s[0:1], s[4:5]
	s_cbranch_execz .LBB25_95
; %bb.94:
	v_bcnt_u32_b32 v18, v18, 0
	v_bcnt_u32_b32 v18, v19, v18
	s_waitcnt lgkmcnt(0)
	v_add_u32_e32 v18, v30, v18
	ds_write_b32 v31, v18 offset:64
.LBB25_95:
	s_or_b64 exec, exec, s[0:1]
	s_waitcnt vmcnt(1)
	v_xor_b32_e32 v11, 0x80000000, v11
	v_lshrrev_b64 v[18:19], s44, v[10:11]
	v_and_b32_e32 v35, s14, v18
	v_lshl_add_u32 v18, v35, 4, v35
	v_add_lshl_u32 v34, v28, v18, 2
	v_and_b32_e32 v18, 1, v35
	v_mov_b32_e32 v19, 0
	v_lshl_add_u64 v[20:21], v[18:19], 0, -1
	v_cmp_ne_u32_e32 vcc, 0, v18
	; wave barrier
	s_nop 1
	v_xor_b32_e32 v20, vcc_lo, v20
	v_xor_b32_e32 v18, vcc_hi, v21
	v_and_b32_e32 v36, exec_lo, v20
	v_lshlrev_b32_e32 v21, 30, v35
	v_mov_b32_e32 v20, v19
	v_cmp_gt_i64_e32 vcc, 0, v[20:21]
	v_not_b32_e32 v20, v21
	v_ashrrev_i32_e32 v20, 31, v20
	v_and_b32_e32 v18, exec_hi, v18
	v_xor_b32_e32 v21, vcc_hi, v20
	v_xor_b32_e32 v20, vcc_lo, v20
	v_and_b32_e32 v18, v18, v21
	v_and_b32_e32 v36, v36, v20
	v_lshlrev_b32_e32 v21, 29, v35
	v_mov_b32_e32 v20, v19
	v_cmp_gt_i64_e32 vcc, 0, v[20:21]
	v_not_b32_e32 v20, v21
	v_ashrrev_i32_e32 v20, 31, v20
	v_xor_b32_e32 v21, vcc_hi, v20
	v_xor_b32_e32 v20, vcc_lo, v20
	v_and_b32_e32 v18, v18, v21
	v_and_b32_e32 v36, v36, v20
	v_lshlrev_b32_e32 v21, 28, v35
	v_mov_b32_e32 v20, v19
	v_cmp_gt_i64_e32 vcc, 0, v[20:21]
	v_not_b32_e32 v20, v21
	v_ashrrev_i32_e32 v20, 31, v20
	;; [unrolled: 9-line block ×6, first 2 shown]
	v_xor_b32_e32 v21, vcc_hi, v20
	v_xor_b32_e32 v20, vcc_lo, v20
	ds_read_b32 v33, v34 offset:64
	v_and_b32_e32 v20, v36, v20
	v_and_b32_e32 v21, v18, v21
	v_mbcnt_lo_u32_b32 v18, v20, 0
	v_mbcnt_hi_u32_b32 v35, v21, v18
	v_cmp_eq_u32_e32 vcc, 0, v35
	v_cmp_ne_u64_e64 s[0:1], 0, v[20:21]
	s_and_b64 s[4:5], s[0:1], vcc
	; wave barrier
	s_and_saveexec_b64 s[0:1], s[4:5]
	s_cbranch_execz .LBB25_97
; %bb.96:
	v_bcnt_u32_b32 v18, v20, 0
	v_bcnt_u32_b32 v18, v21, v18
	s_waitcnt lgkmcnt(0)
	v_add_u32_e32 v18, v33, v18
	ds_write_b32 v34, v18 offset:64
.LBB25_97:
	s_or_b64 exec, exec, s[0:1]
	s_waitcnt vmcnt(0)
	v_xor_b32_e32 v1, 0x80000000, v1
	v_lshrrev_b64 v[20:21], s44, v[0:1]
	v_and_b32_e32 v38, s14, v20
	v_lshl_add_u32 v18, v38, 4, v38
	v_add_lshl_u32 v37, v28, v18, 2
	v_and_b32_e32 v18, 1, v38
	v_lshl_add_u64 v[20:21], v[18:19], 0, -1
	v_cmp_ne_u32_e32 vcc, 0, v18
	; wave barrier
	s_nop 1
	v_xor_b32_e32 v20, vcc_lo, v20
	v_xor_b32_e32 v18, vcc_hi, v21
	v_and_b32_e32 v39, exec_lo, v20
	v_lshlrev_b32_e32 v21, 30, v38
	v_mov_b32_e32 v20, v19
	v_cmp_gt_i64_e32 vcc, 0, v[20:21]
	v_not_b32_e32 v20, v21
	v_ashrrev_i32_e32 v20, 31, v20
	v_and_b32_e32 v18, exec_hi, v18
	v_xor_b32_e32 v21, vcc_hi, v20
	v_xor_b32_e32 v20, vcc_lo, v20
	v_and_b32_e32 v18, v18, v21
	v_and_b32_e32 v39, v39, v20
	v_lshlrev_b32_e32 v21, 29, v38
	v_mov_b32_e32 v20, v19
	v_cmp_gt_i64_e32 vcc, 0, v[20:21]
	v_not_b32_e32 v20, v21
	v_ashrrev_i32_e32 v20, 31, v20
	v_xor_b32_e32 v21, vcc_hi, v20
	v_xor_b32_e32 v20, vcc_lo, v20
	v_and_b32_e32 v18, v18, v21
	v_and_b32_e32 v39, v39, v20
	v_lshlrev_b32_e32 v21, 28, v38
	v_mov_b32_e32 v20, v19
	v_cmp_gt_i64_e32 vcc, 0, v[20:21]
	v_not_b32_e32 v20, v21
	v_ashrrev_i32_e32 v20, 31, v20
	;; [unrolled: 9-line block ×5, first 2 shown]
	v_xor_b32_e32 v21, vcc_hi, v20
	v_xor_b32_e32 v20, vcc_lo, v20
	v_and_b32_e32 v18, v18, v21
	v_lshlrev_b32_e32 v21, 24, v38
	v_and_b32_e32 v39, v39, v20
	v_mov_b32_e32 v20, v19
	v_not_b32_e32 v19, v21
	v_cmp_gt_i64_e32 vcc, 0, v[20:21]
	v_ashrrev_i32_e32 v19, 31, v19
	ds_read_b32 v28, v37 offset:64
	v_xor_b32_e32 v20, vcc_hi, v19
	v_xor_b32_e32 v21, vcc_lo, v19
	v_and_b32_e32 v19, v18, v20
	v_and_b32_e32 v18, v39, v21
	v_mbcnt_lo_u32_b32 v20, v18, 0
	v_mbcnt_hi_u32_b32 v38, v19, v20
	v_cmp_eq_u32_e32 vcc, 0, v38
	v_cmp_ne_u64_e64 s[0:1], 0, v[18:19]
	v_add_u32_e32 v36, 64, v3
	s_and_b64 s[4:5], s[0:1], vcc
	; wave barrier
	s_and_saveexec_b64 s[0:1], s[4:5]
	s_cbranch_execz .LBB25_99
; %bb.98:
	v_bcnt_u32_b32 v18, v18, 0
	v_bcnt_u32_b32 v18, v19, v18
	s_waitcnt lgkmcnt(0)
	v_add_u32_e32 v18, v28, v18
	ds_write_b32 v37, v18 offset:64
.LBB25_99:
	s_or_b64 exec, exec, s[0:1]
	; wave barrier
	s_waitcnt lgkmcnt(0)
	s_barrier
	ds_read2_b32 v[20:21], v3 offset0:16 offset1:17
	ds_read2_b32 v[18:19], v36 offset0:2 offset1:3
	ds_read_b32 v39, v36 offset:16
	v_cmp_lt_u32_e64 s[8:9], 31, v4
	s_waitcnt lgkmcnt(1)
	v_add3_u32 v40, v21, v20, v18
	s_waitcnt lgkmcnt(0)
	v_add3_u32 v39, v40, v19, v39
	v_and_b32_e32 v40, 15, v4
	v_cmp_eq_u32_e32 vcc, 0, v40
	v_mov_b32_dpp v41, v39 row_shr:1 row_mask:0xf bank_mask:0xf
	v_cmp_lt_u32_e64 s[0:1], 1, v40
	v_cndmask_b32_e64 v41, v41, 0, vcc
	v_add_u32_e32 v39, v41, v39
	v_cmp_lt_u32_e64 s[6:7], 3, v40
	v_cmp_lt_u32_e64 s[4:5], 7, v40
	v_mov_b32_dpp v41, v39 row_shr:2 row_mask:0xf bank_mask:0xf
	v_cndmask_b32_e64 v41, 0, v41, s[0:1]
	v_add_u32_e32 v39, v39, v41
	s_nop 1
	v_mov_b32_dpp v41, v39 row_shr:4 row_mask:0xf bank_mask:0xf
	v_cndmask_b32_e64 v41, 0, v41, s[6:7]
	v_add_u32_e32 v39, v39, v41
	s_nop 1
	v_mov_b32_dpp v41, v39 row_shr:8 row_mask:0xf bank_mask:0xf
	v_cndmask_b32_e64 v40, 0, v41, s[4:5]
	v_add_u32_e32 v39, v39, v40
	v_bfe_i32 v41, v4, 4, 1
	s_nop 0
	v_mov_b32_dpp v40, v39 row_bcast:15 row_mask:0xf bank_mask:0xf
	v_and_b32_e32 v40, v41, v40
	v_add_u32_e32 v39, v39, v40
	v_and_b32_e32 v41, 63, v2
	s_nop 0
	v_mov_b32_dpp v40, v39 row_bcast:31 row_mask:0xf bank_mask:0xf
	v_cndmask_b32_e64 v40, 0, v40, s[8:9]
	v_add_u32_e32 v39, v39, v40
	v_lshrrev_b32_e32 v40, 6, v2
	v_cmp_eq_u32_e64 s[8:9], 63, v41
	s_and_saveexec_b64 s[12:13], s[8:9]
	s_cbranch_execz .LBB25_101
; %bb.100:
	v_lshlrev_b32_e32 v41, 2, v40
	ds_write_b32 v41, v39
.LBB25_101:
	s_or_b64 exec, exec, s[12:13]
	v_cmp_gt_u32_e64 s[8:9], 16, v2
	s_waitcnt lgkmcnt(0)
	s_barrier
	s_and_saveexec_b64 s[12:13], s[8:9]
	s_cbranch_execz .LBB25_103
; %bb.102:
	v_lshlrev_b32_e32 v41, 2, v2
	ds_read_b32 v42, v41
	s_waitcnt lgkmcnt(0)
	s_nop 0
	v_mov_b32_dpp v43, v42 row_shr:1 row_mask:0xf bank_mask:0xf
	v_cndmask_b32_e64 v43, v43, 0, vcc
	v_add_u32_e32 v42, v43, v42
	s_nop 1
	v_mov_b32_dpp v43, v42 row_shr:2 row_mask:0xf bank_mask:0xf
	v_cndmask_b32_e64 v43, 0, v43, s[0:1]
	v_add_u32_e32 v42, v42, v43
	s_nop 1
	v_mov_b32_dpp v43, v42 row_shr:4 row_mask:0xf bank_mask:0xf
	v_cndmask_b32_e64 v43, 0, v43, s[6:7]
	;; [unrolled: 4-line block ×3, first 2 shown]
	v_add_u32_e32 v42, v42, v43
	ds_write_b32 v41, v42
.LBB25_103:
	s_or_b64 exec, exec, s[12:13]
	v_cmp_lt_u32_e32 vcc, 63, v2
	v_mov_b32_e32 v41, 0
	s_waitcnt lgkmcnt(0)
	s_barrier
	s_and_saveexec_b64 s[0:1], vcc
	s_cbranch_execz .LBB25_105
; %bb.104:
	v_lshl_add_u32 v40, v40, 2, -4
	ds_read_b32 v41, v40
.LBB25_105:
	s_or_b64 exec, exec, s[0:1]
	v_add_u32_e32 v40, -1, v4
	v_and_b32_e32 v42, 64, v4
	v_cmp_lt_i32_e32 vcc, v40, v42
	s_waitcnt lgkmcnt(0)
	v_add_u32_e32 v39, v41, v39
	s_movk_i32 s4, 0xff
	v_cndmask_b32_e32 v40, v40, v4, vcc
	v_lshlrev_b32_e32 v40, 2, v40
	ds_bpermute_b32 v39, v40, v39
	v_cmp_eq_u32_e32 vcc, 0, v4
	s_movk_i32 s5, 0x100
	v_cmp_lt_u32_e64 s[0:1], s4, v2
	s_waitcnt lgkmcnt(0)
	v_cndmask_b32_e32 v39, v39, v41, vcc
	v_cmp_ne_u32_e32 vcc, 0, v2
	s_nop 1
	v_cndmask_b32_e32 v39, 0, v39, vcc
	v_add_u32_e32 v20, v39, v20
	v_add_u32_e32 v21, v20, v21
	;; [unrolled: 1-line block ×4, first 2 shown]
	ds_write2_b32 v3, v39, v20 offset0:16 offset1:17
	ds_write2_b32 v36, v21, v18 offset0:2 offset1:3
	ds_write_b32 v36, v19 offset:16
	s_waitcnt lgkmcnt(0)
	s_barrier
	ds_read_b32 v3, v7 offset:64
	ds_read_b32 v24, v24 offset:64
	ds_read_b32 v27, v27 offset:64
	ds_read_b32 v31, v31 offset:64
	ds_read_b32 v34, v34 offset:64
	ds_read_b32 v36, v37 offset:64
	v_cmp_gt_u32_e32 vcc, s5, v2
	v_mov_b64_e32 v[18:19], 0
                                        ; implicit-def: $vgpr20
	s_and_saveexec_b64 s[6:7], vcc
	s_cbranch_execz .LBB25_109
; %bb.106:
	v_mul_u32_u24_e32 v7, 17, v2
	v_lshlrev_b32_e32 v19, 2, v7
	ds_read_b32 v18, v19 offset:64
	v_cmp_ne_u32_e64 s[4:5], s4, v2
	v_mov_b32_e32 v7, 0x1800
	s_and_saveexec_b64 s[8:9], s[4:5]
	s_cbranch_execz .LBB25_108
; %bb.107:
	ds_read_b32 v7, v19 offset:132
.LBB25_108:
	s_or_b64 exec, exec, s[8:9]
	s_waitcnt lgkmcnt(0)
	v_sub_u32_e32 v20, v7, v18
	v_mov_b32_e32 v19, 0
.LBB25_109:
	s_or_b64 exec, exec, s[6:7]
	s_waitcnt lgkmcnt(5)
	v_add_u32_e32 v21, v3, v22
	s_waitcnt lgkmcnt(4)
	v_add3_u32 v22, v25, v23, v24
	v_lshlrev_b32_e32 v3, 3, v21
	s_waitcnt lgkmcnt(3)
	v_add3_u32 v23, v29, v26, v27
	s_waitcnt lgkmcnt(0)
	s_barrier
	ds_write_b64 v3, v[8:9] offset:2048
	v_lshlrev_b32_e32 v3, 3, v22
	v_add3_u32 v24, v32, v30, v31
	ds_write_b64 v3, v[16:17] offset:2048
	v_lshlrev_b32_e32 v3, 3, v23
	v_add3_u32 v25, v35, v33, v34
	;; [unrolled: 3-line block ×3, first 2 shown]
	ds_write_b64 v3, v[12:13] offset:2048
	v_lshlrev_b32_e32 v3, 3, v25
	v_mov_b32_e32 v7, v5
	ds_write_b64 v3, v[10:11] offset:2048
	v_lshlrev_b32_e32 v3, 3, v26
	ds_write_b64 v3, v[0:1] offset:2048
	s_waitcnt lgkmcnt(0)
	s_barrier
	s_and_saveexec_b64 s[4:5], s[0:1]
	s_xor_b64 s[0:1], exec, s[4:5]
; %bb.110:
	v_mov_b32_e32 v3, 0
; %bb.111:
	s_andn2_saveexec_b64 s[4:5], s[0:1]
	s_cbranch_execz .LBB25_121
; %bb.112:
	v_lshl_or_b32 v8, s2, 8, v2
	v_mov_b32_e32 v9, 0
	v_lshl_add_u64 v[0:1], v[8:9], 2, s[48:49]
	v_or_b32_e32 v3, 2.0, v20
	s_mov_b64 s[6:7], 0
	s_brev_b32 s15, 1
	s_mov_b32 s16, s2
	v_mov_b32_e32 v12, 0
	global_store_dword v[0:1], v3, off sc1
                                        ; implicit-def: $sgpr0_sgpr1
	s_branch .LBB25_115
.LBB25_113:                             ;   in Loop: Header=BB25_115 Depth=1
	s_or_b64 exec, exec, s[12:13]
.LBB25_114:                             ;   in Loop: Header=BB25_115 Depth=1
	s_or_b64 exec, exec, s[8:9]
	v_and_b32_e32 v8, 0x3fffffff, v8
	v_add_u32_e32 v12, v8, v12
	v_cmp_eq_u32_e64 s[0:1], s15, v3
	s_and_b64 s[8:9], exec, s[0:1]
	s_or_b64 s[6:7], s[8:9], s[6:7]
	s_andn2_b64 exec, exec, s[6:7]
	s_cbranch_execz .LBB25_120
.LBB25_115:                             ; =>This Loop Header: Depth=1
                                        ;     Child Loop BB25_118 Depth 2
	s_or_b64 s[0:1], s[0:1], exec
	s_cmp_eq_u32 s16, 0
	s_cbranch_scc1 .LBB25_119
; %bb.116:                              ;   in Loop: Header=BB25_115 Depth=1
	s_add_i32 s16, s16, -1
	v_lshl_or_b32 v8, s16, 8, v2
	v_lshl_add_u64 v[10:11], v[8:9], 2, s[48:49]
	global_load_dword v8, v[10:11], off sc1
	s_waitcnt vmcnt(0)
	v_and_b32_e32 v3, -2.0, v8
	v_cmp_eq_u32_e64 s[0:1], 0, v3
	s_and_saveexec_b64 s[8:9], s[0:1]
	s_cbranch_execz .LBB25_114
; %bb.117:                              ;   in Loop: Header=BB25_115 Depth=1
	s_mov_b64 s[12:13], 0
.LBB25_118:                             ;   Parent Loop BB25_115 Depth=1
                                        ; =>  This Inner Loop Header: Depth=2
	global_load_dword v8, v[10:11], off sc1
	s_waitcnt vmcnt(0)
	v_and_b32_e32 v3, -2.0, v8
	v_cmp_ne_u32_e64 s[0:1], 0, v3
	s_or_b64 s[12:13], s[0:1], s[12:13]
	s_andn2_b64 exec, exec, s[12:13]
	s_cbranch_execnz .LBB25_118
	s_branch .LBB25_113
.LBB25_119:                             ;   in Loop: Header=BB25_115 Depth=1
                                        ; implicit-def: $sgpr16
	s_and_b64 s[8:9], exec, s[0:1]
	s_or_b64 s[6:7], s[8:9], s[6:7]
	s_andn2_b64 exec, exec, s[6:7]
	s_cbranch_execnz .LBB25_115
.LBB25_120:
	s_or_b64 exec, exec, s[6:7]
	v_add_u32_e32 v3, v12, v20
	v_or_b32_e32 v3, 0x80000000, v3
	global_store_dword v[0:1], v3, off sc1
	v_lshlrev_b32_e32 v10, 3, v2
	global_load_dwordx2 v[0:1], v10, s[28:29]
	v_sub_co_u32_e64 v8, s[0:1], v12, v18
	v_mov_b32_e32 v3, 0
	s_nop 0
	v_subb_co_u32_e64 v9, s[0:1], 0, v19, s[0:1]
	s_waitcnt vmcnt(0)
	v_lshl_add_u64 v[0:1], v[8:9], 0, v[0:1]
	ds_write_b64 v10, v[0:1]
.LBB25_121:
	s_or_b64 exec, exec, s[4:5]
	v_lshlrev_b32_e32 v27, 3, v2
	s_waitcnt lgkmcnt(0)
	s_barrier
	ds_read2st64_b64 v[8:11], v27 offset0:20 offset1:36
	v_lshlrev_b32_e32 v0, 3, v2
	ds_read2st64_b64 v[12:15], v27 offset0:52 offset1:68
	ds_read_b64 v[0:1], v0 offset:2048
	s_add_u32 s0, s40, s34
	s_addc_u32 s1, s41, 0
	s_waitcnt lgkmcnt(2)
	v_lshrrev_b64 v[16:17], s44, v[10:11]
	v_and_b32_e32 v16, s14, v16
	v_lshlrev_b32_e32 v40, 3, v16
	s_waitcnt lgkmcnt(1)
	v_lshrrev_b64 v[16:17], s44, v[14:15]
	v_and_b32_e32 v16, s14, v16
	v_lshlrev_b32_e32 v41, 3, v16
	s_waitcnt lgkmcnt(0)
	v_lshrrev_b64 v[32:33], s44, v[0:1]
	ds_read_b64 v[16:17], v41
	ds_read_b64 v[28:29], v40
	ds_read_b64 v[30:31], v27 offset:43008
	v_and_b32_e32 v32, s14, v32
	v_lshlrev_b32_e32 v42, 3, v32
	v_lshrrev_b64 v[32:33], s44, v[8:9]
	v_and_b32_e32 v32, s14, v32
	v_lshlrev_b32_e32 v43, 3, v32
	v_lshrrev_b64 v[32:33], s44, v[12:13]
	v_and_b32_e32 v32, s14, v32
	v_lshlrev_b32_e32 v44, 3, v32
	s_waitcnt lgkmcnt(0)
	v_lshrrev_b64 v[32:33], s44, v[30:31]
	v_and_b32_e32 v34, s14, v32
	ds_read_b64 v[32:33], v42
	v_lshlrev_b32_e32 v45, 3, v34
	ds_read_b64 v[34:35], v43
	ds_read_b64 v[36:37], v44
	;; [unrolled: 1-line block ×3, first 2 shown]
	v_xor_b32_e32 v1, 0x80000000, v1
	v_xor_b32_e32 v9, 0x80000000, v9
	s_waitcnt lgkmcnt(3)
	v_lshl_add_u64 v[32:33], v[32:33], 3, s[38:39]
	v_lshl_add_u64 v[32:33], v[2:3], 3, v[32:33]
	global_store_dwordx2 v[32:33], v[0:1], off
	s_waitcnt lgkmcnt(2)
	v_lshl_add_u64 v[32:33], v[34:35], 3, s[38:39]
	v_or_b32_e32 v0, 0x2000, v27
	v_mov_b32_e32 v1, 0
	v_lshl_add_u64 v[32:33], v[32:33], 0, v[0:1]
	global_store_dwordx2 v[32:33], v[8:9], off
	v_lshl_add_u64 v[8:9], v[28:29], 3, s[38:39]
	v_or_b32_e32 v0, 0x4000, v27
	v_xor_b32_e32 v11, 0x80000000, v11
	v_lshl_add_u64 v[8:9], v[8:9], 0, v[0:1]
	global_store_dwordx2 v[8:9], v[10:11], off
	s_waitcnt lgkmcnt(1)
	v_lshl_add_u64 v[8:9], v[36:37], 3, s[38:39]
	v_or_b32_e32 v0, 0x6000, v27
	v_xor_b32_e32 v13, 0x80000000, v13
	v_lshl_add_u64 v[8:9], v[8:9], 0, v[0:1]
	v_or_b32_e32 v0, 0x1000, v2
	global_store_dwordx2 v[8:9], v[12:13], off
	v_lshl_add_u64 v[8:9], v[16:17], 3, s[38:39]
	v_lshlrev_b32_e32 v10, 3, v0
	v_mov_b32_e32 v11, v1
	v_xor_b32_e32 v15, 0x80000000, v15
	v_lshl_add_u64 v[8:9], v[8:9], 0, v[10:11]
	global_store_dwordx2 v[8:9], v[14:15], off
	v_or_b32_e32 v8, 0x1400, v2
	s_waitcnt lgkmcnt(0)
	v_lshl_add_u64 v[10:11], v[38:39], 3, s[38:39]
	v_lshlrev_b32_e32 v12, 3, v8
	v_mov_b32_e32 v13, v1
	v_xor_b32_e32 v31, 0x80000000, v31
	v_lshl_add_u64 v[10:11], v[10:11], 0, v[12:13]
	v_lshl_add_u64 v[4:5], s[0:1], 0, v[4:5]
	global_store_dwordx2 v[10:11], v[30:31], off
	v_lshl_add_u64 v[4:5], v[4:5], 0, v[6:7]
	global_load_ubyte v6, v[4:5], off
	global_load_ubyte v7, v[4:5], off offset:64
	global_load_ubyte v10, v[4:5], off offset:128
	;; [unrolled: 1-line block ×5, first 2 shown]
	s_barrier
	s_add_i32 s3, s3, -1
	s_cmp_eq_u32 s2, s3
	v_mov_b32_e32 v9, v1
	s_cselect_b64 s[0:1], -1, 0
	s_and_b64 s[2:3], vcc, s[0:1]
	s_waitcnt vmcnt(5)
	ds_write_b8 v21, v6 offset:2048
	s_waitcnt vmcnt(4)
	ds_write_b8 v22, v7 offset:2048
	;; [unrolled: 2-line block ×6, first 2 shown]
	s_waitcnt lgkmcnt(0)
	s_barrier
	ds_read_u8 v21, v2 offset:3072
	ds_read_b64 v[4:5], v42
	ds_read_b64 v[6:7], v43
	;; [unrolled: 1-line block ×5, first 2 shown]
	ds_read_u8 v22, v2 offset:4096
	ds_read_u8 v23, v2 offset:5120
	;; [unrolled: 1-line block ×5, first 2 shown]
	ds_read_b64 v[16:17], v45
	s_waitcnt lgkmcnt(10)
	v_lshl_add_u64 v[4:5], s[42:43], 0, v[4:5]
	s_waitcnt lgkmcnt(9)
	v_lshl_add_u64 v[6:7], s[42:43], 0, v[6:7]
	;; [unrolled: 2-line block ×4, first 2 shown]
	v_lshl_add_u64 v[4:5], v[4:5], 0, v[2:3]
	v_lshl_add_u64 v[6:7], v[6:7], 0, v[2:3]
	;; [unrolled: 1-line block ×4, first 2 shown]
	s_waitcnt lgkmcnt(1)
	global_store_byte v[4:5], v26, off
	global_store_byte v[6:7], v21, off offset:1024
	global_store_byte v[10:11], v22, off offset:2048
	;; [unrolled: 1-line block ×3, first 2 shown]
	v_lshl_add_u64 v[4:5], s[42:43], 0, v[14:15]
	v_lshl_add_u64 v[4:5], v[4:5], 0, v[0:1]
	global_store_byte v[4:5], v24, off
	s_waitcnt lgkmcnt(0)
	v_lshl_add_u64 v[4:5], s[42:43], 0, v[16:17]
	v_lshl_add_u64 v[4:5], v[4:5], 0, v[8:9]
	global_store_byte v[4:5], v25, off
                                        ; implicit-def: $vgpr4_vgpr5
	s_and_saveexec_b64 s[0:1], s[2:3]
; %bb.122:
	v_mov_b32_e32 v21, v1
	v_lshl_add_u64 v[4:5], v[18:19], 0, v[20:21]
	s_or_b64 s[10:11], s[10:11], exec
; %bb.123:
	s_or_b64 exec, exec, s[0:1]
.LBB25_124:
	s_and_saveexec_b64 s[0:1], s[10:11]
	s_cbranch_execnz .LBB25_126
; %bb.125:
	s_endpgm
.LBB25_126:
	v_lshlrev_b32_e32 v0, 3, v2
	ds_read_b64 v[0:1], v0
	v_mov_b32_e32 v6, s30
	v_mov_b32_e32 v7, s31
	v_lshl_add_u64 v[2:3], v[2:3], 3, v[6:7]
	s_waitcnt lgkmcnt(0)
	v_lshl_add_u64 v[0:1], v[0:1], 0, v[4:5]
	global_store_dwordx2 v[2:3], v[0:1], off
	s_endpgm
.LBB25_127:
	global_load_ubyte v6, v[4:5], off
	s_or_b64 exec, exec, s[46:47]
                                        ; implicit-def: $vgpr7
	s_and_saveexec_b64 s[46:47], s[26:27]
	s_cbranch_execz .LBB25_59
.LBB25_128:
	global_load_ubyte v7, v[4:5], off offset:64
	s_or_b64 exec, exec, s[46:47]
                                        ; implicit-def: $vgpr9
	s_and_saveexec_b64 s[26:27], s[4:5]
	s_cbranch_execz .LBB25_60
.LBB25_129:
	global_load_ubyte v9, v[4:5], off offset:128
	s_or_b64 exec, exec, s[26:27]
                                        ; implicit-def: $vgpr11
	s_and_saveexec_b64 s[4:5], s[6:7]
	s_cbranch_execz .LBB25_61
.LBB25_130:
	global_load_ubyte v11, v[4:5], off offset:192
	s_or_b64 exec, exec, s[4:5]
                                        ; implicit-def: $vgpr15
	s_and_saveexec_b64 s[4:5], s[8:9]
	s_cbranch_execz .LBB25_62
.LBB25_131:
	global_load_ubyte v15, v[4:5], off offset:256
	s_or_b64 exec, exec, s[4:5]
                                        ; implicit-def: $vgpr17
	s_and_saveexec_b64 s[4:5], s[10:11]
	s_cbranch_execnz .LBB25_63
	s_branch .LBB25_64
.LBB25_132:
	v_lshlrev_b32_e32 v3, 3, v18
	ds_read_b64 v[6:7], v3
	ds_read_u8 v9, v2 offset:2048
	v_mov_b32_e32 v3, 0
	s_waitcnt lgkmcnt(1)
	v_lshl_add_u64 v[6:7], s[42:43], 0, v[6:7]
	v_lshl_add_u64 v[6:7], v[6:7], 0, v[2:3]
	s_waitcnt lgkmcnt(0)
	global_store_byte v[6:7], v9, off
	s_or_b64 exec, exec, s[4:5]
	s_and_saveexec_b64 s[4:5], s[16:17]
	s_cbranch_execz .LBB25_78
.LBB25_133:
	v_lshlrev_b32_e32 v3, 3, v13
	ds_read_b64 v[6:7], v3
	ds_read_u8 v9, v2 offset:3072
	v_mov_b32_e32 v3, 0
	s_waitcnt lgkmcnt(1)
	v_lshl_add_u64 v[6:7], s[42:43], 0, v[6:7]
	v_lshl_add_u64 v[6:7], v[6:7], 0, v[2:3]
	s_waitcnt lgkmcnt(0)
	global_store_byte v[6:7], v9, off offset:1024
	s_or_b64 exec, exec, s[4:5]
	s_and_saveexec_b64 s[4:5], s[18:19]
	s_cbranch_execz .LBB25_79
.LBB25_134:
	v_lshlrev_b32_e32 v3, 3, v16
	ds_read_b64 v[6:7], v3
	ds_read_u8 v9, v2 offset:4096
	v_mov_b32_e32 v3, 0
	s_waitcnt lgkmcnt(1)
	v_lshl_add_u64 v[6:7], s[42:43], 0, v[6:7]
	v_lshl_add_u64 v[6:7], v[6:7], 0, v[2:3]
	s_waitcnt lgkmcnt(0)
	global_store_byte v[6:7], v9, off offset:2048
	s_or_b64 exec, exec, s[4:5]
	s_and_saveexec_b64 s[4:5], s[20:21]
	s_cbranch_execz .LBB25_80
.LBB25_135:
	v_lshlrev_b32_e32 v3, 3, v5
	ds_read_b64 v[6:7], v3
	ds_read_u8 v5, v2 offset:5120
	v_mov_b32_e32 v3, 0
	s_waitcnt lgkmcnt(1)
	v_lshl_add_u64 v[6:7], s[42:43], 0, v[6:7]
	v_lshl_add_u64 v[6:7], v[6:7], 0, v[2:3]
	s_waitcnt lgkmcnt(0)
	global_store_byte v[6:7], v5, off offset:3072
	s_or_b64 exec, exec, s[4:5]
	s_and_saveexec_b64 s[4:5], s[22:23]
	s_cbranch_execz .LBB25_81
.LBB25_136:
	v_lshlrev_b32_e32 v3, 3, v14
	ds_read_b64 v[6:7], v3
	ds_read_u8 v3, v2 offset:6144
	v_mov_b32_e32 v9, 0
	s_waitcnt lgkmcnt(1)
	v_lshl_add_u64 v[6:7], s[42:43], 0, v[6:7]
	v_lshl_add_u64 v[6:7], v[6:7], 0, v[8:9]
	s_waitcnt lgkmcnt(0)
	global_store_byte v[6:7], v3, off
	s_or_b64 exec, exec, s[4:5]
	s_and_saveexec_b64 s[4:5], s[24:25]
	s_cbranch_execnz .LBB25_82
	s_branch .LBB25_83
	.section	.rodata,"a",@progbits
	.p2align	6, 0x0
	.amdhsa_kernel _ZN7rocprim17ROCPRIM_304000_NS6detail25onesweep_iteration_kernelINS1_34wrapped_radix_sort_onesweep_configINS0_14default_configElN2at4cuda3cub6detail10OpaqueTypeILi1EEEEELb0EPlSC_PSA_SD_mNS0_19identity_decomposerEEEvT1_T2_T3_T4_jPT5_SK_PNS1_23onesweep_lookback_stateET6_jjj
		.amdhsa_group_segment_fixed_size 51200
		.amdhsa_private_segment_fixed_size 0
		.amdhsa_kernarg_size 336
		.amdhsa_user_sgpr_count 2
		.amdhsa_user_sgpr_dispatch_ptr 0
		.amdhsa_user_sgpr_queue_ptr 0
		.amdhsa_user_sgpr_kernarg_segment_ptr 1
		.amdhsa_user_sgpr_dispatch_id 0
		.amdhsa_user_sgpr_kernarg_preload_length 0
		.amdhsa_user_sgpr_kernarg_preload_offset 0
		.amdhsa_user_sgpr_private_segment_size 0
		.amdhsa_uses_dynamic_stack 0
		.amdhsa_enable_private_segment 0
		.amdhsa_system_sgpr_workgroup_id_x 1
		.amdhsa_system_sgpr_workgroup_id_y 0
		.amdhsa_system_sgpr_workgroup_id_z 0
		.amdhsa_system_sgpr_workgroup_info 0
		.amdhsa_system_vgpr_workitem_id 2
		.amdhsa_next_free_vgpr 46
		.amdhsa_next_free_sgpr 50
		.amdhsa_accum_offset 48
		.amdhsa_reserve_vcc 1
		.amdhsa_float_round_mode_32 0
		.amdhsa_float_round_mode_16_64 0
		.amdhsa_float_denorm_mode_32 3
		.amdhsa_float_denorm_mode_16_64 3
		.amdhsa_dx10_clamp 1
		.amdhsa_ieee_mode 1
		.amdhsa_fp16_overflow 0
		.amdhsa_tg_split 0
		.amdhsa_exception_fp_ieee_invalid_op 0
		.amdhsa_exception_fp_denorm_src 0
		.amdhsa_exception_fp_ieee_div_zero 0
		.amdhsa_exception_fp_ieee_overflow 0
		.amdhsa_exception_fp_ieee_underflow 0
		.amdhsa_exception_fp_ieee_inexact 0
		.amdhsa_exception_int_div_zero 0
	.end_amdhsa_kernel
	.section	.text._ZN7rocprim17ROCPRIM_304000_NS6detail25onesweep_iteration_kernelINS1_34wrapped_radix_sort_onesweep_configINS0_14default_configElN2at4cuda3cub6detail10OpaqueTypeILi1EEEEELb0EPlSC_PSA_SD_mNS0_19identity_decomposerEEEvT1_T2_T3_T4_jPT5_SK_PNS1_23onesweep_lookback_stateET6_jjj,"axG",@progbits,_ZN7rocprim17ROCPRIM_304000_NS6detail25onesweep_iteration_kernelINS1_34wrapped_radix_sort_onesweep_configINS0_14default_configElN2at4cuda3cub6detail10OpaqueTypeILi1EEEEELb0EPlSC_PSA_SD_mNS0_19identity_decomposerEEEvT1_T2_T3_T4_jPT5_SK_PNS1_23onesweep_lookback_stateET6_jjj,comdat
.Lfunc_end25:
	.size	_ZN7rocprim17ROCPRIM_304000_NS6detail25onesweep_iteration_kernelINS1_34wrapped_radix_sort_onesweep_configINS0_14default_configElN2at4cuda3cub6detail10OpaqueTypeILi1EEEEELb0EPlSC_PSA_SD_mNS0_19identity_decomposerEEEvT1_T2_T3_T4_jPT5_SK_PNS1_23onesweep_lookback_stateET6_jjj, .Lfunc_end25-_ZN7rocprim17ROCPRIM_304000_NS6detail25onesweep_iteration_kernelINS1_34wrapped_radix_sort_onesweep_configINS0_14default_configElN2at4cuda3cub6detail10OpaqueTypeILi1EEEEELb0EPlSC_PSA_SD_mNS0_19identity_decomposerEEEvT1_T2_T3_T4_jPT5_SK_PNS1_23onesweep_lookback_stateET6_jjj
                                        ; -- End function
	.section	.AMDGPU.csdata,"",@progbits
; Kernel info:
; codeLenInByte = 11124
; NumSgprs: 56
; NumVgprs: 46
; NumAgprs: 0
; TotalNumVgprs: 46
; ScratchSize: 0
; MemoryBound: 0
; FloatMode: 240
; IeeeMode: 1
; LDSByteSize: 51200 bytes/workgroup (compile time only)
; SGPRBlocks: 6
; VGPRBlocks: 5
; NumSGPRsForWavesPerEU: 56
; NumVGPRsForWavesPerEU: 46
; AccumOffset: 48
; Occupancy: 4
; WaveLimiterHint : 1
; COMPUTE_PGM_RSRC2:SCRATCH_EN: 0
; COMPUTE_PGM_RSRC2:USER_SGPR: 2
; COMPUTE_PGM_RSRC2:TRAP_HANDLER: 0
; COMPUTE_PGM_RSRC2:TGID_X_EN: 1
; COMPUTE_PGM_RSRC2:TGID_Y_EN: 0
; COMPUTE_PGM_RSRC2:TGID_Z_EN: 0
; COMPUTE_PGM_RSRC2:TIDIG_COMP_CNT: 2
; COMPUTE_PGM_RSRC3_GFX90A:ACCUM_OFFSET: 11
; COMPUTE_PGM_RSRC3_GFX90A:TG_SPLIT: 0
	.text
	.p2alignl 6, 3212836864
	.fill 256, 4, 3212836864
	.type	__hip_cuid_764150096d7327d2,@object ; @__hip_cuid_764150096d7327d2
	.section	.bss,"aw",@nobits
	.globl	__hip_cuid_764150096d7327d2
__hip_cuid_764150096d7327d2:
	.byte	0                               ; 0x0
	.size	__hip_cuid_764150096d7327d2, 1

	.ident	"AMD clang version 19.0.0git (https://github.com/RadeonOpenCompute/llvm-project roc-6.4.0 25133 c7fe45cf4b819c5991fe208aaa96edf142730f1d)"
	.section	".note.GNU-stack","",@progbits
	.addrsig
	.addrsig_sym __hip_cuid_764150096d7327d2
	.amdgpu_metadata
---
amdhsa.kernels:
  - .agpr_count:     0
    .args:
      - .address_space:  global
        .offset:         0
        .size:           8
        .value_kind:     global_buffer
      - .address_space:  global
        .offset:         8
        .size:           8
        .value_kind:     global_buffer
      - .address_space:  global
        .offset:         16
        .size:           8
        .value_kind:     global_buffer
      - .address_space:  global
        .offset:         24
        .size:           8
        .value_kind:     global_buffer
      - .offset:         32
        .size:           4
        .value_kind:     by_value
      - .offset:         36
        .size:           1
        .value_kind:     by_value
      - .offset:         40
        .size:           4
        .value_kind:     by_value
      - .offset:         44
        .size:           4
        .value_kind:     by_value
      - .offset:         48
        .size:           4
        .value_kind:     hidden_block_count_x
      - .offset:         52
        .size:           4
        .value_kind:     hidden_block_count_y
      - .offset:         56
        .size:           4
        .value_kind:     hidden_block_count_z
      - .offset:         60
        .size:           2
        .value_kind:     hidden_group_size_x
      - .offset:         62
        .size:           2
        .value_kind:     hidden_group_size_y
      - .offset:         64
        .size:           2
        .value_kind:     hidden_group_size_z
      - .offset:         66
        .size:           2
        .value_kind:     hidden_remainder_x
      - .offset:         68
        .size:           2
        .value_kind:     hidden_remainder_y
      - .offset:         70
        .size:           2
        .value_kind:     hidden_remainder_z
      - .offset:         88
        .size:           8
        .value_kind:     hidden_global_offset_x
      - .offset:         96
        .size:           8
        .value_kind:     hidden_global_offset_y
      - .offset:         104
        .size:           8
        .value_kind:     hidden_global_offset_z
      - .offset:         112
        .size:           2
        .value_kind:     hidden_grid_dims
    .group_segment_fixed_size: 8192
    .kernarg_segment_align: 8
    .kernarg_segment_size: 304
    .language:       OpenCL C
    .language_version:
      - 2
      - 0
    .max_flat_workgroup_size: 256
    .name:           _ZN7rocprim17ROCPRIM_304000_NS6detail28radix_sort_block_sort_kernelINS1_36wrapped_radix_sort_block_sort_configINS0_13kernel_configILj256ELj4ELj4294967295EEElN2at4cuda3cub6detail10OpaqueTypeILi1EEEEELb1EPKlPlPKSB_PSB_NS0_19identity_decomposerEEEvT1_T2_T3_T4_jT5_jj
    .private_segment_fixed_size: 0
    .sgpr_count:     52
    .sgpr_spill_count: 0
    .symbol:         _ZN7rocprim17ROCPRIM_304000_NS6detail28radix_sort_block_sort_kernelINS1_36wrapped_radix_sort_block_sort_configINS0_13kernel_configILj256ELj4ELj4294967295EEElN2at4cuda3cub6detail10OpaqueTypeILi1EEEEELb1EPKlPlPKSB_PSB_NS0_19identity_decomposerEEEvT1_T2_T3_T4_jT5_jj.kd
    .uniform_work_group_size: 1
    .uses_dynamic_stack: false
    .vgpr_count:     52
    .vgpr_spill_count: 0
    .wavefront_size: 64
  - .agpr_count:     0
    .args:           []
    .group_segment_fixed_size: 0
    .kernarg_segment_align: 4
    .kernarg_segment_size: 0
    .language:       OpenCL C
    .language_version:
      - 2
      - 0
    .max_flat_workgroup_size: 1024
    .name:           _ZN7rocprim17ROCPRIM_304000_NS6detail39device_merge_sort_compile_time_verifierINS1_36wrapped_merge_sort_block_sort_configINS1_28merge_sort_block_sort_configILj256ELj4ELNS0_20block_sort_algorithmE0EEElN2at4cuda3cub6detail10OpaqueTypeILi1EEEEENS1_37wrapped_merge_sort_block_merge_configINS0_14default_configElSC_EEEEvv
    .private_segment_fixed_size: 0
    .sgpr_count:     6
    .sgpr_spill_count: 0
    .symbol:         _ZN7rocprim17ROCPRIM_304000_NS6detail39device_merge_sort_compile_time_verifierINS1_36wrapped_merge_sort_block_sort_configINS1_28merge_sort_block_sort_configILj256ELj4ELNS0_20block_sort_algorithmE0EEElN2at4cuda3cub6detail10OpaqueTypeILi1EEEEENS1_37wrapped_merge_sort_block_merge_configINS0_14default_configElSC_EEEEvv.kd
    .uniform_work_group_size: 1
    .uses_dynamic_stack: false
    .vgpr_count:     0
    .vgpr_spill_count: 0
    .wavefront_size: 64
  - .agpr_count:     0
    .args:
      - .address_space:  global
        .offset:         0
        .size:           8
        .value_kind:     global_buffer
      - .offset:         8
        .size:           4
        .value_kind:     by_value
      - .offset:         12
        .size:           4
        .value_kind:     by_value
      - .address_space:  global
        .offset:         16
        .size:           8
        .value_kind:     global_buffer
      - .offset:         24
        .size:           1
        .value_kind:     by_value
      - .offset:         28
        .size:           4
        .value_kind:     by_value
    .group_segment_fixed_size: 0
    .kernarg_segment_align: 8
    .kernarg_segment_size: 32
    .language:       OpenCL C
    .language_version:
      - 2
      - 0
    .max_flat_workgroup_size: 128
    .name:           _ZN7rocprim17ROCPRIM_304000_NS6detail45device_block_merge_mergepath_partition_kernelINS1_37wrapped_merge_sort_block_merge_configINS0_14default_configElN2at4cuda3cub6detail10OpaqueTypeILi1EEEEEPljNS1_19radix_merge_compareILb1ELb0ElNS0_19identity_decomposerEEEEEvT0_T1_jPSH_T2_SH_
    .private_segment_fixed_size: 0
    .sgpr_count:     12
    .sgpr_spill_count: 0
    .symbol:         _ZN7rocprim17ROCPRIM_304000_NS6detail45device_block_merge_mergepath_partition_kernelINS1_37wrapped_merge_sort_block_merge_configINS0_14default_configElN2at4cuda3cub6detail10OpaqueTypeILi1EEEEEPljNS1_19radix_merge_compareILb1ELb0ElNS0_19identity_decomposerEEEEEvT0_T1_jPSH_T2_SH_.kd
    .uniform_work_group_size: 1
    .uses_dynamic_stack: false
    .vgpr_count:     20
    .vgpr_spill_count: 0
    .wavefront_size: 64
  - .agpr_count:     0
    .args:
      - .address_space:  global
        .offset:         0
        .size:           8
        .value_kind:     global_buffer
      - .address_space:  global
        .offset:         8
        .size:           8
        .value_kind:     global_buffer
      - .address_space:  global
        .offset:         16
        .size:           8
        .value_kind:     global_buffer
      - .address_space:  global
        .offset:         24
        .size:           8
        .value_kind:     global_buffer
      - .offset:         32
        .size:           4
        .value_kind:     by_value
      - .offset:         36
        .size:           4
        .value_kind:     by_value
      - .offset:         40
        .size:           4
        .value_kind:     by_value
      - .offset:         44
        .size:           1
        .value_kind:     by_value
      - .address_space:  global
        .offset:         48
        .size:           8
        .value_kind:     global_buffer
      - .address_space:  global
        .offset:         56
        .size:           8
        .value_kind:     global_buffer
      - .offset:         64
        .size:           4
        .value_kind:     hidden_block_count_x
      - .offset:         68
        .size:           4
        .value_kind:     hidden_block_count_y
      - .offset:         72
        .size:           4
        .value_kind:     hidden_block_count_z
      - .offset:         76
        .size:           2
        .value_kind:     hidden_group_size_x
      - .offset:         78
        .size:           2
        .value_kind:     hidden_group_size_y
      - .offset:         80
        .size:           2
        .value_kind:     hidden_group_size_z
      - .offset:         82
        .size:           2
        .value_kind:     hidden_remainder_x
      - .offset:         84
        .size:           2
        .value_kind:     hidden_remainder_y
      - .offset:         86
        .size:           2
        .value_kind:     hidden_remainder_z
      - .offset:         104
        .size:           8
        .value_kind:     hidden_global_offset_x
      - .offset:         112
        .size:           8
        .value_kind:     hidden_global_offset_y
      - .offset:         120
        .size:           8
        .value_kind:     hidden_global_offset_z
      - .offset:         128
        .size:           2
        .value_kind:     hidden_grid_dims
    .group_segment_fixed_size: 8448
    .kernarg_segment_align: 8
    .kernarg_segment_size: 320
    .language:       OpenCL C
    .language_version:
      - 2
      - 0
    .max_flat_workgroup_size: 256
    .name:           _ZN7rocprim17ROCPRIM_304000_NS6detail35device_block_merge_mergepath_kernelINS1_37wrapped_merge_sort_block_merge_configINS0_14default_configElN2at4cuda3cub6detail10OpaqueTypeILi1EEEEEPlSC_PSA_SD_jNS1_19radix_merge_compareILb1ELb0ElNS0_19identity_decomposerEEEEEvT0_T1_T2_T3_T4_SL_jT5_PKSL_NS1_7vsmem_tE
    .private_segment_fixed_size: 0
    .sgpr_count:     38
    .sgpr_spill_count: 0
    .symbol:         _ZN7rocprim17ROCPRIM_304000_NS6detail35device_block_merge_mergepath_kernelINS1_37wrapped_merge_sort_block_merge_configINS0_14default_configElN2at4cuda3cub6detail10OpaqueTypeILi1EEEEEPlSC_PSA_SD_jNS1_19radix_merge_compareILb1ELb0ElNS0_19identity_decomposerEEEEEvT0_T1_T2_T3_T4_SL_jT5_PKSL_NS1_7vsmem_tE.kd
    .uniform_work_group_size: 1
    .uses_dynamic_stack: false
    .vgpr_count:     27
    .vgpr_spill_count: 0
    .wavefront_size: 64
  - .agpr_count:     0
    .args:
      - .address_space:  global
        .offset:         0
        .size:           8
        .value_kind:     global_buffer
      - .address_space:  global
        .offset:         8
        .size:           8
        .value_kind:     global_buffer
      - .address_space:  global
        .offset:         16
        .size:           8
        .value_kind:     global_buffer
      - .address_space:  global
        .offset:         24
        .size:           8
        .value_kind:     global_buffer
      - .offset:         32
        .size:           4
        .value_kind:     by_value
      - .offset:         36
        .size:           4
        .value_kind:     by_value
      - .offset:         40
        .size:           1
        .value_kind:     by_value
    .group_segment_fixed_size: 0
    .kernarg_segment_align: 8
    .kernarg_segment_size: 44
    .language:       OpenCL C
    .language_version:
      - 2
      - 0
    .max_flat_workgroup_size: 256
    .name:           _ZN7rocprim17ROCPRIM_304000_NS6detail33device_block_merge_oddeven_kernelINS1_37wrapped_merge_sort_block_merge_configINS0_14default_configElN2at4cuda3cub6detail10OpaqueTypeILi1EEEEEPlSC_PSA_SD_jNS1_19radix_merge_compareILb1ELb0ElNS0_19identity_decomposerEEEEEvT0_T1_T2_T3_T4_SL_T5_
    .private_segment_fixed_size: 0
    .sgpr_count:     28
    .sgpr_spill_count: 0
    .symbol:         _ZN7rocprim17ROCPRIM_304000_NS6detail33device_block_merge_oddeven_kernelINS1_37wrapped_merge_sort_block_merge_configINS0_14default_configElN2at4cuda3cub6detail10OpaqueTypeILi1EEEEEPlSC_PSA_SD_jNS1_19radix_merge_compareILb1ELb0ElNS0_19identity_decomposerEEEEEvT0_T1_T2_T3_T4_SL_T5_.kd
    .uniform_work_group_size: 1
    .uses_dynamic_stack: false
    .vgpr_count:     12
    .vgpr_spill_count: 0
    .wavefront_size: 64
  - .agpr_count:     0
    .args:
      - .address_space:  global
        .offset:         0
        .size:           8
        .value_kind:     global_buffer
      - .offset:         8
        .size:           8
        .value_kind:     by_value
      - .address_space:  global
        .offset:         16
        .size:           8
        .value_kind:     global_buffer
      - .offset:         24
        .size:           1
        .value_kind:     by_value
      - .offset:         32
        .size:           4
        .value_kind:     hidden_block_count_x
      - .offset:         36
        .size:           4
        .value_kind:     hidden_block_count_y
      - .offset:         40
        .size:           4
        .value_kind:     hidden_block_count_z
      - .offset:         44
        .size:           2
        .value_kind:     hidden_group_size_x
      - .offset:         46
        .size:           2
        .value_kind:     hidden_group_size_y
      - .offset:         48
        .size:           2
        .value_kind:     hidden_group_size_z
      - .offset:         50
        .size:           2
        .value_kind:     hidden_remainder_x
      - .offset:         52
        .size:           2
        .value_kind:     hidden_remainder_y
      - .offset:         54
        .size:           2
        .value_kind:     hidden_remainder_z
      - .offset:         72
        .size:           8
        .value_kind:     hidden_global_offset_x
      - .offset:         80
        .size:           8
        .value_kind:     hidden_global_offset_y
      - .offset:         88
        .size:           8
        .value_kind:     hidden_global_offset_z
      - .offset:         96
        .size:           2
        .value_kind:     hidden_grid_dims
    .group_segment_fixed_size: 0
    .kernarg_segment_align: 8
    .kernarg_segment_size: 288
    .language:       OpenCL C
    .language_version:
      - 2
      - 0
    .max_flat_workgroup_size: 256
    .name:           _ZN7rocprim17ROCPRIM_304000_NS6detail16transform_kernelINS1_24wrapped_transform_configINS0_14default_configElEElPlS6_NS0_8identityIlEEEEvT1_mT2_T3_
    .private_segment_fixed_size: 0
    .sgpr_count:     18
    .sgpr_spill_count: 0
    .symbol:         _ZN7rocprim17ROCPRIM_304000_NS6detail16transform_kernelINS1_24wrapped_transform_configINS0_14default_configElEElPlS6_NS0_8identityIlEEEEvT1_mT2_T3_.kd
    .uniform_work_group_size: 1
    .uses_dynamic_stack: false
    .vgpr_count:     10
    .vgpr_spill_count: 0
    .wavefront_size: 64
  - .agpr_count:     0
    .args:
      - .address_space:  global
        .offset:         0
        .size:           8
        .value_kind:     global_buffer
      - .offset:         8
        .size:           8
        .value_kind:     by_value
      - .address_space:  global
        .offset:         16
        .size:           8
        .value_kind:     global_buffer
      - .offset:         24
        .size:           1
        .value_kind:     by_value
      - .offset:         32
        .size:           4
        .value_kind:     hidden_block_count_x
      - .offset:         36
        .size:           4
        .value_kind:     hidden_block_count_y
      - .offset:         40
        .size:           4
        .value_kind:     hidden_block_count_z
      - .offset:         44
        .size:           2
        .value_kind:     hidden_group_size_x
      - .offset:         46
        .size:           2
        .value_kind:     hidden_group_size_y
      - .offset:         48
        .size:           2
        .value_kind:     hidden_group_size_z
      - .offset:         50
        .size:           2
        .value_kind:     hidden_remainder_x
      - .offset:         52
        .size:           2
        .value_kind:     hidden_remainder_y
      - .offset:         54
        .size:           2
        .value_kind:     hidden_remainder_z
      - .offset:         72
        .size:           8
        .value_kind:     hidden_global_offset_x
      - .offset:         80
        .size:           8
        .value_kind:     hidden_global_offset_y
      - .offset:         88
        .size:           8
        .value_kind:     hidden_global_offset_z
      - .offset:         96
        .size:           2
        .value_kind:     hidden_grid_dims
    .group_segment_fixed_size: 0
    .kernarg_segment_align: 8
    .kernarg_segment_size: 288
    .language:       OpenCL C
    .language_version:
      - 2
      - 0
    .max_flat_workgroup_size: 256
    .name:           _ZN7rocprim17ROCPRIM_304000_NS6detail16transform_kernelINS1_24wrapped_transform_configINS0_14default_configEN2at4cuda3cub6detail10OpaqueTypeILi1EEEEESA_PSA_SC_NS0_8identityISA_EEEEvT1_mT2_T3_
    .private_segment_fixed_size: 0
    .sgpr_count:     42
    .sgpr_spill_count: 0
    .symbol:         _ZN7rocprim17ROCPRIM_304000_NS6detail16transform_kernelINS1_24wrapped_transform_configINS0_14default_configEN2at4cuda3cub6detail10OpaqueTypeILi1EEEEESA_PSA_SC_NS0_8identityISA_EEEEvT1_mT2_T3_.kd
    .uniform_work_group_size: 1
    .uses_dynamic_stack: false
    .vgpr_count:     22
    .vgpr_spill_count: 0
    .wavefront_size: 64
  - .agpr_count:     0
    .args:
      - .address_space:  global
        .offset:         0
        .size:           8
        .value_kind:     global_buffer
      - .offset:         8
        .size:           4
        .value_kind:     by_value
      - .offset:         12
        .size:           4
        .value_kind:     by_value
      - .address_space:  global
        .offset:         16
        .size:           8
        .value_kind:     global_buffer
      - .offset:         24
        .size:           8
        .value_kind:     by_value
      - .offset:         32
        .size:           4
        .value_kind:     by_value
    .group_segment_fixed_size: 0
    .kernarg_segment_align: 8
    .kernarg_segment_size: 36
    .language:       OpenCL C
    .language_version:
      - 2
      - 0
    .max_flat_workgroup_size: 128
    .name:           _ZN7rocprim17ROCPRIM_304000_NS6detail45device_block_merge_mergepath_partition_kernelINS1_37wrapped_merge_sort_block_merge_configINS0_14default_configElN2at4cuda3cub6detail10OpaqueTypeILi1EEEEEPljNS1_19radix_merge_compareILb1ELb1ElNS0_19identity_decomposerEEEEEvT0_T1_jPSH_T2_SH_
    .private_segment_fixed_size: 0
    .sgpr_count:     16
    .sgpr_spill_count: 0
    .symbol:         _ZN7rocprim17ROCPRIM_304000_NS6detail45device_block_merge_mergepath_partition_kernelINS1_37wrapped_merge_sort_block_merge_configINS0_14default_configElN2at4cuda3cub6detail10OpaqueTypeILi1EEEEEPljNS1_19radix_merge_compareILb1ELb1ElNS0_19identity_decomposerEEEEEvT0_T1_jPSH_T2_SH_.kd
    .uniform_work_group_size: 1
    .uses_dynamic_stack: false
    .vgpr_count:     16
    .vgpr_spill_count: 0
    .wavefront_size: 64
  - .agpr_count:     0
    .args:
      - .address_space:  global
        .offset:         0
        .size:           8
        .value_kind:     global_buffer
      - .address_space:  global
        .offset:         8
        .size:           8
        .value_kind:     global_buffer
      - .address_space:  global
        .offset:         16
        .size:           8
        .value_kind:     global_buffer
      - .address_space:  global
        .offset:         24
        .size:           8
        .value_kind:     global_buffer
      - .offset:         32
        .size:           4
        .value_kind:     by_value
      - .offset:         36
        .size:           4
        .value_kind:     by_value
      - .offset:         40
        .size:           4
        .value_kind:     by_value
      - .offset:         48
        .size:           8
        .value_kind:     by_value
      - .address_space:  global
        .offset:         56
        .size:           8
        .value_kind:     global_buffer
      - .address_space:  global
        .offset:         64
        .size:           8
        .value_kind:     global_buffer
      - .offset:         72
        .size:           4
        .value_kind:     hidden_block_count_x
      - .offset:         76
        .size:           4
        .value_kind:     hidden_block_count_y
      - .offset:         80
        .size:           4
        .value_kind:     hidden_block_count_z
      - .offset:         84
        .size:           2
        .value_kind:     hidden_group_size_x
      - .offset:         86
        .size:           2
        .value_kind:     hidden_group_size_y
      - .offset:         88
        .size:           2
        .value_kind:     hidden_group_size_z
      - .offset:         90
        .size:           2
        .value_kind:     hidden_remainder_x
      - .offset:         92
        .size:           2
        .value_kind:     hidden_remainder_y
      - .offset:         94
        .size:           2
        .value_kind:     hidden_remainder_z
      - .offset:         112
        .size:           8
        .value_kind:     hidden_global_offset_x
      - .offset:         120
        .size:           8
        .value_kind:     hidden_global_offset_y
      - .offset:         128
        .size:           8
        .value_kind:     hidden_global_offset_z
      - .offset:         136
        .size:           2
        .value_kind:     hidden_grid_dims
    .group_segment_fixed_size: 8448
    .kernarg_segment_align: 8
    .kernarg_segment_size: 328
    .language:       OpenCL C
    .language_version:
      - 2
      - 0
    .max_flat_workgroup_size: 256
    .name:           _ZN7rocprim17ROCPRIM_304000_NS6detail35device_block_merge_mergepath_kernelINS1_37wrapped_merge_sort_block_merge_configINS0_14default_configElN2at4cuda3cub6detail10OpaqueTypeILi1EEEEEPlSC_PSA_SD_jNS1_19radix_merge_compareILb1ELb1ElNS0_19identity_decomposerEEEEEvT0_T1_T2_T3_T4_SL_jT5_PKSL_NS1_7vsmem_tE
    .private_segment_fixed_size: 0
    .sgpr_count:     40
    .sgpr_spill_count: 0
    .symbol:         _ZN7rocprim17ROCPRIM_304000_NS6detail35device_block_merge_mergepath_kernelINS1_37wrapped_merge_sort_block_merge_configINS0_14default_configElN2at4cuda3cub6detail10OpaqueTypeILi1EEEEEPlSC_PSA_SD_jNS1_19radix_merge_compareILb1ELb1ElNS0_19identity_decomposerEEEEEvT0_T1_T2_T3_T4_SL_jT5_PKSL_NS1_7vsmem_tE.kd
    .uniform_work_group_size: 1
    .uses_dynamic_stack: false
    .vgpr_count:     27
    .vgpr_spill_count: 0
    .wavefront_size: 64
  - .agpr_count:     0
    .args:
      - .address_space:  global
        .offset:         0
        .size:           8
        .value_kind:     global_buffer
      - .address_space:  global
        .offset:         8
        .size:           8
        .value_kind:     global_buffer
      - .address_space:  global
        .offset:         16
        .size:           8
        .value_kind:     global_buffer
      - .address_space:  global
        .offset:         24
        .size:           8
        .value_kind:     global_buffer
      - .offset:         32
        .size:           4
        .value_kind:     by_value
      - .offset:         36
        .size:           4
        .value_kind:     by_value
      - .offset:         40
        .size:           8
        .value_kind:     by_value
    .group_segment_fixed_size: 0
    .kernarg_segment_align: 8
    .kernarg_segment_size: 48
    .language:       OpenCL C
    .language_version:
      - 2
      - 0
    .max_flat_workgroup_size: 256
    .name:           _ZN7rocprim17ROCPRIM_304000_NS6detail33device_block_merge_oddeven_kernelINS1_37wrapped_merge_sort_block_merge_configINS0_14default_configElN2at4cuda3cub6detail10OpaqueTypeILi1EEEEEPlSC_PSA_SD_jNS1_19radix_merge_compareILb1ELb1ElNS0_19identity_decomposerEEEEEvT0_T1_T2_T3_T4_SL_T5_
    .private_segment_fixed_size: 0
    .sgpr_count:     30
    .sgpr_spill_count: 0
    .symbol:         _ZN7rocprim17ROCPRIM_304000_NS6detail33device_block_merge_oddeven_kernelINS1_37wrapped_merge_sort_block_merge_configINS0_14default_configElN2at4cuda3cub6detail10OpaqueTypeILi1EEEEEPlSC_PSA_SD_jNS1_19radix_merge_compareILb1ELb1ElNS0_19identity_decomposerEEEEEvT0_T1_T2_T3_T4_SL_T5_.kd
    .uniform_work_group_size: 1
    .uses_dynamic_stack: false
    .vgpr_count:     14
    .vgpr_spill_count: 0
    .wavefront_size: 64
  - .agpr_count:     0
    .args:
      - .address_space:  global
        .offset:         0
        .size:           8
        .value_kind:     global_buffer
      - .address_space:  global
        .offset:         8
        .size:           8
        .value_kind:     global_buffer
      - .offset:         16
        .size:           8
        .value_kind:     by_value
      - .offset:         24
        .size:           8
        .value_kind:     by_value
      - .offset:         32
        .size:           1
        .value_kind:     by_value
      - .offset:         36
        .size:           4
        .value_kind:     by_value
      - .offset:         40
        .size:           4
        .value_kind:     by_value
    .group_segment_fixed_size: 32768
    .kernarg_segment_align: 8
    .kernarg_segment_size: 44
    .language:       OpenCL C
    .language_version:
      - 2
      - 0
    .max_flat_workgroup_size: 1024
    .name:           _ZN7rocprim17ROCPRIM_304000_NS6detail26onesweep_histograms_kernelINS1_34wrapped_radix_sort_onesweep_configINS0_14default_configElN2at4cuda3cub6detail10OpaqueTypeILi1EEEEELb1EPKlmNS0_19identity_decomposerEEEvT1_PT2_SG_SG_T3_jj
    .private_segment_fixed_size: 0
    .sgpr_count:     85
    .sgpr_spill_count: 0
    .symbol:         _ZN7rocprim17ROCPRIM_304000_NS6detail26onesweep_histograms_kernelINS1_34wrapped_radix_sort_onesweep_configINS0_14default_configElN2at4cuda3cub6detail10OpaqueTypeILi1EEEEELb1EPKlmNS0_19identity_decomposerEEEvT1_PT2_SG_SG_T3_jj.kd
    .uniform_work_group_size: 1
    .uses_dynamic_stack: false
    .vgpr_count:     98
    .vgpr_spill_count: 0
    .wavefront_size: 64
  - .agpr_count:     0
    .args:
      - .address_space:  global
        .offset:         0
        .size:           8
        .value_kind:     global_buffer
    .group_segment_fixed_size: 128
    .kernarg_segment_align: 8
    .kernarg_segment_size: 8
    .language:       OpenCL C
    .language_version:
      - 2
      - 0
    .max_flat_workgroup_size: 1024
    .name:           _ZN7rocprim17ROCPRIM_304000_NS6detail31onesweep_scan_histograms_kernelINS1_34wrapped_radix_sort_onesweep_configINS0_14default_configElN2at4cuda3cub6detail10OpaqueTypeILi1EEEEEmEEvPT0_
    .private_segment_fixed_size: 0
    .sgpr_count:     24
    .sgpr_spill_count: 0
    .symbol:         _ZN7rocprim17ROCPRIM_304000_NS6detail31onesweep_scan_histograms_kernelINS1_34wrapped_radix_sort_onesweep_configINS0_14default_configElN2at4cuda3cub6detail10OpaqueTypeILi1EEEEEmEEvPT0_.kd
    .uniform_work_group_size: 1
    .uses_dynamic_stack: false
    .vgpr_count:     16
    .vgpr_spill_count: 0
    .wavefront_size: 64
  - .agpr_count:     0
    .args:
      - .address_space:  global
        .offset:         0
        .size:           8
        .value_kind:     global_buffer
      - .offset:         8
        .size:           8
        .value_kind:     by_value
      - .address_space:  global
        .offset:         16
        .size:           8
        .value_kind:     global_buffer
      - .offset:         24
        .size:           1
        .value_kind:     by_value
      - .offset:         32
        .size:           4
        .value_kind:     hidden_block_count_x
      - .offset:         36
        .size:           4
        .value_kind:     hidden_block_count_y
      - .offset:         40
        .size:           4
        .value_kind:     hidden_block_count_z
      - .offset:         44
        .size:           2
        .value_kind:     hidden_group_size_x
      - .offset:         46
        .size:           2
        .value_kind:     hidden_group_size_y
      - .offset:         48
        .size:           2
        .value_kind:     hidden_group_size_z
      - .offset:         50
        .size:           2
        .value_kind:     hidden_remainder_x
      - .offset:         52
        .size:           2
        .value_kind:     hidden_remainder_y
      - .offset:         54
        .size:           2
        .value_kind:     hidden_remainder_z
      - .offset:         72
        .size:           8
        .value_kind:     hidden_global_offset_x
      - .offset:         80
        .size:           8
        .value_kind:     hidden_global_offset_y
      - .offset:         88
        .size:           8
        .value_kind:     hidden_global_offset_z
      - .offset:         96
        .size:           2
        .value_kind:     hidden_grid_dims
    .group_segment_fixed_size: 0
    .kernarg_segment_align: 8
    .kernarg_segment_size: 288
    .language:       OpenCL C
    .language_version:
      - 2
      - 0
    .max_flat_workgroup_size: 256
    .name:           _ZN7rocprim17ROCPRIM_304000_NS6detail16transform_kernelINS1_24wrapped_transform_configINS0_14default_configElEElPKlPlNS0_8identityIlEEEEvT1_mT2_T3_
    .private_segment_fixed_size: 0
    .sgpr_count:     18
    .sgpr_spill_count: 0
    .symbol:         _ZN7rocprim17ROCPRIM_304000_NS6detail16transform_kernelINS1_24wrapped_transform_configINS0_14default_configElEElPKlPlNS0_8identityIlEEEEvT1_mT2_T3_.kd
    .uniform_work_group_size: 1
    .uses_dynamic_stack: false
    .vgpr_count:     10
    .vgpr_spill_count: 0
    .wavefront_size: 64
  - .agpr_count:     0
    .args:
      - .address_space:  global
        .offset:         0
        .size:           8
        .value_kind:     global_buffer
      - .offset:         8
        .size:           8
        .value_kind:     by_value
      - .address_space:  global
        .offset:         16
        .size:           8
        .value_kind:     global_buffer
      - .offset:         24
        .size:           1
        .value_kind:     by_value
      - .offset:         32
        .size:           4
        .value_kind:     hidden_block_count_x
      - .offset:         36
        .size:           4
        .value_kind:     hidden_block_count_y
      - .offset:         40
        .size:           4
        .value_kind:     hidden_block_count_z
      - .offset:         44
        .size:           2
        .value_kind:     hidden_group_size_x
      - .offset:         46
        .size:           2
        .value_kind:     hidden_group_size_y
      - .offset:         48
        .size:           2
        .value_kind:     hidden_group_size_z
      - .offset:         50
        .size:           2
        .value_kind:     hidden_remainder_x
      - .offset:         52
        .size:           2
        .value_kind:     hidden_remainder_y
      - .offset:         54
        .size:           2
        .value_kind:     hidden_remainder_z
      - .offset:         72
        .size:           8
        .value_kind:     hidden_global_offset_x
      - .offset:         80
        .size:           8
        .value_kind:     hidden_global_offset_y
      - .offset:         88
        .size:           8
        .value_kind:     hidden_global_offset_z
      - .offset:         96
        .size:           2
        .value_kind:     hidden_grid_dims
    .group_segment_fixed_size: 0
    .kernarg_segment_align: 8
    .kernarg_segment_size: 288
    .language:       OpenCL C
    .language_version:
      - 2
      - 0
    .max_flat_workgroup_size: 256
    .name:           _ZN7rocprim17ROCPRIM_304000_NS6detail16transform_kernelINS1_24wrapped_transform_configINS0_14default_configEN2at4cuda3cub6detail10OpaqueTypeILi1EEEEESA_PKSA_PSA_NS0_8identityISA_EEEEvT1_mT2_T3_
    .private_segment_fixed_size: 0
    .sgpr_count:     42
    .sgpr_spill_count: 0
    .symbol:         _ZN7rocprim17ROCPRIM_304000_NS6detail16transform_kernelINS1_24wrapped_transform_configINS0_14default_configEN2at4cuda3cub6detail10OpaqueTypeILi1EEEEESA_PKSA_PSA_NS0_8identityISA_EEEEvT1_mT2_T3_.kd
    .uniform_work_group_size: 1
    .uses_dynamic_stack: false
    .vgpr_count:     22
    .vgpr_spill_count: 0
    .wavefront_size: 64
  - .agpr_count:     0
    .args:
      - .address_space:  global
        .offset:         0
        .size:           8
        .value_kind:     global_buffer
      - .address_space:  global
        .offset:         8
        .size:           8
        .value_kind:     global_buffer
      - .address_space:  global
        .offset:         16
        .size:           8
        .value_kind:     global_buffer
      - .address_space:  global
        .offset:         24
        .size:           8
        .value_kind:     global_buffer
      - .offset:         32
        .size:           4
        .value_kind:     by_value
      - .address_space:  global
        .offset:         40
        .size:           8
        .value_kind:     global_buffer
      - .address_space:  global
        .offset:         48
        .size:           8
        .value_kind:     global_buffer
      - .address_space:  global
        .offset:         56
        .size:           8
        .value_kind:     global_buffer
      - .offset:         64
        .size:           1
        .value_kind:     by_value
      - .offset:         68
        .size:           4
        .value_kind:     by_value
      - .offset:         72
        .size:           4
        .value_kind:     by_value
      - .offset:         76
        .size:           4
        .value_kind:     by_value
      - .offset:         80
        .size:           4
        .value_kind:     hidden_block_count_x
      - .offset:         84
        .size:           4
        .value_kind:     hidden_block_count_y
      - .offset:         88
        .size:           4
        .value_kind:     hidden_block_count_z
      - .offset:         92
        .size:           2
        .value_kind:     hidden_group_size_x
      - .offset:         94
        .size:           2
        .value_kind:     hidden_group_size_y
      - .offset:         96
        .size:           2
        .value_kind:     hidden_group_size_z
      - .offset:         98
        .size:           2
        .value_kind:     hidden_remainder_x
      - .offset:         100
        .size:           2
        .value_kind:     hidden_remainder_y
      - .offset:         102
        .size:           2
        .value_kind:     hidden_remainder_z
      - .offset:         120
        .size:           8
        .value_kind:     hidden_global_offset_x
      - .offset:         128
        .size:           8
        .value_kind:     hidden_global_offset_y
      - .offset:         136
        .size:           8
        .value_kind:     hidden_global_offset_z
      - .offset:         144
        .size:           2
        .value_kind:     hidden_grid_dims
    .group_segment_fixed_size: 51200
    .kernarg_segment_align: 8
    .kernarg_segment_size: 336
    .language:       OpenCL C
    .language_version:
      - 2
      - 0
    .max_flat_workgroup_size: 1024
    .name:           _ZN7rocprim17ROCPRIM_304000_NS6detail25onesweep_iteration_kernelINS1_34wrapped_radix_sort_onesweep_configINS0_14default_configElN2at4cuda3cub6detail10OpaqueTypeILi1EEEEELb1EPKlPlPKSA_PSA_mNS0_19identity_decomposerEEEvT1_T2_T3_T4_jPT5_SO_PNS1_23onesweep_lookback_stateET6_jjj
    .private_segment_fixed_size: 0
    .sgpr_count:     56
    .sgpr_spill_count: 0
    .symbol:         _ZN7rocprim17ROCPRIM_304000_NS6detail25onesweep_iteration_kernelINS1_34wrapped_radix_sort_onesweep_configINS0_14default_configElN2at4cuda3cub6detail10OpaqueTypeILi1EEEEELb1EPKlPlPKSA_PSA_mNS0_19identity_decomposerEEEvT1_T2_T3_T4_jPT5_SO_PNS1_23onesweep_lookback_stateET6_jjj.kd
    .uniform_work_group_size: 1
    .uses_dynamic_stack: false
    .vgpr_count:     46
    .vgpr_spill_count: 0
    .wavefront_size: 64
  - .agpr_count:     0
    .args:
      - .address_space:  global
        .offset:         0
        .size:           8
        .value_kind:     global_buffer
      - .address_space:  global
        .offset:         8
        .size:           8
        .value_kind:     global_buffer
      - .address_space:  global
        .offset:         16
        .size:           8
        .value_kind:     global_buffer
      - .address_space:  global
        .offset:         24
        .size:           8
        .value_kind:     global_buffer
      - .offset:         32
        .size:           4
        .value_kind:     by_value
      - .address_space:  global
        .offset:         40
        .size:           8
        .value_kind:     global_buffer
      - .address_space:  global
        .offset:         48
        .size:           8
        .value_kind:     global_buffer
      - .address_space:  global
        .offset:         56
        .size:           8
        .value_kind:     global_buffer
      - .offset:         64
        .size:           1
        .value_kind:     by_value
      - .offset:         68
        .size:           4
        .value_kind:     by_value
      - .offset:         72
        .size:           4
        .value_kind:     by_value
      - .offset:         76
        .size:           4
        .value_kind:     by_value
      - .offset:         80
        .size:           4
        .value_kind:     hidden_block_count_x
      - .offset:         84
        .size:           4
        .value_kind:     hidden_block_count_y
      - .offset:         88
        .size:           4
        .value_kind:     hidden_block_count_z
      - .offset:         92
        .size:           2
        .value_kind:     hidden_group_size_x
      - .offset:         94
        .size:           2
        .value_kind:     hidden_group_size_y
      - .offset:         96
        .size:           2
        .value_kind:     hidden_group_size_z
      - .offset:         98
        .size:           2
        .value_kind:     hidden_remainder_x
      - .offset:         100
        .size:           2
        .value_kind:     hidden_remainder_y
      - .offset:         102
        .size:           2
        .value_kind:     hidden_remainder_z
      - .offset:         120
        .size:           8
        .value_kind:     hidden_global_offset_x
      - .offset:         128
        .size:           8
        .value_kind:     hidden_global_offset_y
      - .offset:         136
        .size:           8
        .value_kind:     hidden_global_offset_z
      - .offset:         144
        .size:           2
        .value_kind:     hidden_grid_dims
    .group_segment_fixed_size: 51200
    .kernarg_segment_align: 8
    .kernarg_segment_size: 336
    .language:       OpenCL C
    .language_version:
      - 2
      - 0
    .max_flat_workgroup_size: 1024
    .name:           _ZN7rocprim17ROCPRIM_304000_NS6detail25onesweep_iteration_kernelINS1_34wrapped_radix_sort_onesweep_configINS0_14default_configElN2at4cuda3cub6detail10OpaqueTypeILi1EEEEELb1EPlSC_PSA_SD_mNS0_19identity_decomposerEEEvT1_T2_T3_T4_jPT5_SK_PNS1_23onesweep_lookback_stateET6_jjj
    .private_segment_fixed_size: 0
    .sgpr_count:     56
    .sgpr_spill_count: 0
    .symbol:         _ZN7rocprim17ROCPRIM_304000_NS6detail25onesweep_iteration_kernelINS1_34wrapped_radix_sort_onesweep_configINS0_14default_configElN2at4cuda3cub6detail10OpaqueTypeILi1EEEEELb1EPlSC_PSA_SD_mNS0_19identity_decomposerEEEvT1_T2_T3_T4_jPT5_SK_PNS1_23onesweep_lookback_stateET6_jjj.kd
    .uniform_work_group_size: 1
    .uses_dynamic_stack: false
    .vgpr_count:     46
    .vgpr_spill_count: 0
    .wavefront_size: 64
  - .agpr_count:     0
    .args:
      - .address_space:  global
        .offset:         0
        .size:           8
        .value_kind:     global_buffer
      - .address_space:  global
        .offset:         8
        .size:           8
        .value_kind:     global_buffer
      - .address_space:  global
        .offset:         16
        .size:           8
        .value_kind:     global_buffer
      - .address_space:  global
        .offset:         24
        .size:           8
        .value_kind:     global_buffer
      - .offset:         32
        .size:           4
        .value_kind:     by_value
      - .offset:         36
        .size:           1
        .value_kind:     by_value
      - .offset:         40
        .size:           4
        .value_kind:     by_value
      - .offset:         44
        .size:           4
        .value_kind:     by_value
      - .offset:         48
        .size:           4
        .value_kind:     hidden_block_count_x
      - .offset:         52
        .size:           4
        .value_kind:     hidden_block_count_y
      - .offset:         56
        .size:           4
        .value_kind:     hidden_block_count_z
      - .offset:         60
        .size:           2
        .value_kind:     hidden_group_size_x
      - .offset:         62
        .size:           2
        .value_kind:     hidden_group_size_y
      - .offset:         64
        .size:           2
        .value_kind:     hidden_group_size_z
      - .offset:         66
        .size:           2
        .value_kind:     hidden_remainder_x
      - .offset:         68
        .size:           2
        .value_kind:     hidden_remainder_y
      - .offset:         70
        .size:           2
        .value_kind:     hidden_remainder_z
      - .offset:         88
        .size:           8
        .value_kind:     hidden_global_offset_x
      - .offset:         96
        .size:           8
        .value_kind:     hidden_global_offset_y
      - .offset:         104
        .size:           8
        .value_kind:     hidden_global_offset_z
      - .offset:         112
        .size:           2
        .value_kind:     hidden_grid_dims
    .group_segment_fixed_size: 8192
    .kernarg_segment_align: 8
    .kernarg_segment_size: 304
    .language:       OpenCL C
    .language_version:
      - 2
      - 0
    .max_flat_workgroup_size: 256
    .name:           _ZN7rocprim17ROCPRIM_304000_NS6detail28radix_sort_block_sort_kernelINS1_36wrapped_radix_sort_block_sort_configINS0_13kernel_configILj256ELj4ELj4294967295EEElN2at4cuda3cub6detail10OpaqueTypeILi1EEEEELb0EPKlPlPKSB_PSB_NS0_19identity_decomposerEEEvT1_T2_T3_T4_jT5_jj
    .private_segment_fixed_size: 0
    .sgpr_count:     52
    .sgpr_spill_count: 0
    .symbol:         _ZN7rocprim17ROCPRIM_304000_NS6detail28radix_sort_block_sort_kernelINS1_36wrapped_radix_sort_block_sort_configINS0_13kernel_configILj256ELj4ELj4294967295EEElN2at4cuda3cub6detail10OpaqueTypeILi1EEEEELb0EPKlPlPKSB_PSB_NS0_19identity_decomposerEEEvT1_T2_T3_T4_jT5_jj.kd
    .uniform_work_group_size: 1
    .uses_dynamic_stack: false
    .vgpr_count:     52
    .vgpr_spill_count: 0
    .wavefront_size: 64
  - .agpr_count:     0
    .args:
      - .address_space:  global
        .offset:         0
        .size:           8
        .value_kind:     global_buffer
      - .offset:         8
        .size:           4
        .value_kind:     by_value
      - .offset:         12
        .size:           4
        .value_kind:     by_value
      - .address_space:  global
        .offset:         16
        .size:           8
        .value_kind:     global_buffer
      - .offset:         24
        .size:           1
        .value_kind:     by_value
      - .offset:         28
        .size:           4
        .value_kind:     by_value
    .group_segment_fixed_size: 0
    .kernarg_segment_align: 8
    .kernarg_segment_size: 32
    .language:       OpenCL C
    .language_version:
      - 2
      - 0
    .max_flat_workgroup_size: 128
    .name:           _ZN7rocprim17ROCPRIM_304000_NS6detail45device_block_merge_mergepath_partition_kernelINS1_37wrapped_merge_sort_block_merge_configINS0_14default_configElN2at4cuda3cub6detail10OpaqueTypeILi1EEEEEPljNS1_19radix_merge_compareILb0ELb0ElNS0_19identity_decomposerEEEEEvT0_T1_jPSH_T2_SH_
    .private_segment_fixed_size: 0
    .sgpr_count:     12
    .sgpr_spill_count: 0
    .symbol:         _ZN7rocprim17ROCPRIM_304000_NS6detail45device_block_merge_mergepath_partition_kernelINS1_37wrapped_merge_sort_block_merge_configINS0_14default_configElN2at4cuda3cub6detail10OpaqueTypeILi1EEEEEPljNS1_19radix_merge_compareILb0ELb0ElNS0_19identity_decomposerEEEEEvT0_T1_jPSH_T2_SH_.kd
    .uniform_work_group_size: 1
    .uses_dynamic_stack: false
    .vgpr_count:     20
    .vgpr_spill_count: 0
    .wavefront_size: 64
  - .agpr_count:     0
    .args:
      - .address_space:  global
        .offset:         0
        .size:           8
        .value_kind:     global_buffer
      - .address_space:  global
        .offset:         8
        .size:           8
        .value_kind:     global_buffer
      - .address_space:  global
        .offset:         16
        .size:           8
        .value_kind:     global_buffer
      - .address_space:  global
        .offset:         24
        .size:           8
        .value_kind:     global_buffer
      - .offset:         32
        .size:           4
        .value_kind:     by_value
      - .offset:         36
        .size:           4
        .value_kind:     by_value
      - .offset:         40
        .size:           4
        .value_kind:     by_value
      - .offset:         44
        .size:           1
        .value_kind:     by_value
      - .address_space:  global
        .offset:         48
        .size:           8
        .value_kind:     global_buffer
      - .address_space:  global
        .offset:         56
        .size:           8
        .value_kind:     global_buffer
      - .offset:         64
        .size:           4
        .value_kind:     hidden_block_count_x
      - .offset:         68
        .size:           4
        .value_kind:     hidden_block_count_y
      - .offset:         72
        .size:           4
        .value_kind:     hidden_block_count_z
      - .offset:         76
        .size:           2
        .value_kind:     hidden_group_size_x
      - .offset:         78
        .size:           2
        .value_kind:     hidden_group_size_y
      - .offset:         80
        .size:           2
        .value_kind:     hidden_group_size_z
      - .offset:         82
        .size:           2
        .value_kind:     hidden_remainder_x
      - .offset:         84
        .size:           2
        .value_kind:     hidden_remainder_y
      - .offset:         86
        .size:           2
        .value_kind:     hidden_remainder_z
      - .offset:         104
        .size:           8
        .value_kind:     hidden_global_offset_x
      - .offset:         112
        .size:           8
        .value_kind:     hidden_global_offset_y
      - .offset:         120
        .size:           8
        .value_kind:     hidden_global_offset_z
      - .offset:         128
        .size:           2
        .value_kind:     hidden_grid_dims
    .group_segment_fixed_size: 8448
    .kernarg_segment_align: 8
    .kernarg_segment_size: 320
    .language:       OpenCL C
    .language_version:
      - 2
      - 0
    .max_flat_workgroup_size: 256
    .name:           _ZN7rocprim17ROCPRIM_304000_NS6detail35device_block_merge_mergepath_kernelINS1_37wrapped_merge_sort_block_merge_configINS0_14default_configElN2at4cuda3cub6detail10OpaqueTypeILi1EEEEEPlSC_PSA_SD_jNS1_19radix_merge_compareILb0ELb0ElNS0_19identity_decomposerEEEEEvT0_T1_T2_T3_T4_SL_jT5_PKSL_NS1_7vsmem_tE
    .private_segment_fixed_size: 0
    .sgpr_count:     38
    .sgpr_spill_count: 0
    .symbol:         _ZN7rocprim17ROCPRIM_304000_NS6detail35device_block_merge_mergepath_kernelINS1_37wrapped_merge_sort_block_merge_configINS0_14default_configElN2at4cuda3cub6detail10OpaqueTypeILi1EEEEEPlSC_PSA_SD_jNS1_19radix_merge_compareILb0ELb0ElNS0_19identity_decomposerEEEEEvT0_T1_T2_T3_T4_SL_jT5_PKSL_NS1_7vsmem_tE.kd
    .uniform_work_group_size: 1
    .uses_dynamic_stack: false
    .vgpr_count:     27
    .vgpr_spill_count: 0
    .wavefront_size: 64
  - .agpr_count:     0
    .args:
      - .address_space:  global
        .offset:         0
        .size:           8
        .value_kind:     global_buffer
      - .address_space:  global
        .offset:         8
        .size:           8
        .value_kind:     global_buffer
      - .address_space:  global
        .offset:         16
        .size:           8
        .value_kind:     global_buffer
      - .address_space:  global
        .offset:         24
        .size:           8
        .value_kind:     global_buffer
      - .offset:         32
        .size:           4
        .value_kind:     by_value
      - .offset:         36
        .size:           4
        .value_kind:     by_value
      - .offset:         40
        .size:           1
        .value_kind:     by_value
    .group_segment_fixed_size: 0
    .kernarg_segment_align: 8
    .kernarg_segment_size: 44
    .language:       OpenCL C
    .language_version:
      - 2
      - 0
    .max_flat_workgroup_size: 256
    .name:           _ZN7rocprim17ROCPRIM_304000_NS6detail33device_block_merge_oddeven_kernelINS1_37wrapped_merge_sort_block_merge_configINS0_14default_configElN2at4cuda3cub6detail10OpaqueTypeILi1EEEEEPlSC_PSA_SD_jNS1_19radix_merge_compareILb0ELb0ElNS0_19identity_decomposerEEEEEvT0_T1_T2_T3_T4_SL_T5_
    .private_segment_fixed_size: 0
    .sgpr_count:     28
    .sgpr_spill_count: 0
    .symbol:         _ZN7rocprim17ROCPRIM_304000_NS6detail33device_block_merge_oddeven_kernelINS1_37wrapped_merge_sort_block_merge_configINS0_14default_configElN2at4cuda3cub6detail10OpaqueTypeILi1EEEEEPlSC_PSA_SD_jNS1_19radix_merge_compareILb0ELb0ElNS0_19identity_decomposerEEEEEvT0_T1_T2_T3_T4_SL_T5_.kd
    .uniform_work_group_size: 1
    .uses_dynamic_stack: false
    .vgpr_count:     12
    .vgpr_spill_count: 0
    .wavefront_size: 64
  - .agpr_count:     0
    .args:
      - .address_space:  global
        .offset:         0
        .size:           8
        .value_kind:     global_buffer
      - .offset:         8
        .size:           4
        .value_kind:     by_value
      - .offset:         12
        .size:           4
        .value_kind:     by_value
      - .address_space:  global
        .offset:         16
        .size:           8
        .value_kind:     global_buffer
      - .offset:         24
        .size:           8
        .value_kind:     by_value
      - .offset:         32
        .size:           4
        .value_kind:     by_value
    .group_segment_fixed_size: 0
    .kernarg_segment_align: 8
    .kernarg_segment_size: 36
    .language:       OpenCL C
    .language_version:
      - 2
      - 0
    .max_flat_workgroup_size: 128
    .name:           _ZN7rocprim17ROCPRIM_304000_NS6detail45device_block_merge_mergepath_partition_kernelINS1_37wrapped_merge_sort_block_merge_configINS0_14default_configElN2at4cuda3cub6detail10OpaqueTypeILi1EEEEEPljNS1_19radix_merge_compareILb0ELb1ElNS0_19identity_decomposerEEEEEvT0_T1_jPSH_T2_SH_
    .private_segment_fixed_size: 0
    .sgpr_count:     16
    .sgpr_spill_count: 0
    .symbol:         _ZN7rocprim17ROCPRIM_304000_NS6detail45device_block_merge_mergepath_partition_kernelINS1_37wrapped_merge_sort_block_merge_configINS0_14default_configElN2at4cuda3cub6detail10OpaqueTypeILi1EEEEEPljNS1_19radix_merge_compareILb0ELb1ElNS0_19identity_decomposerEEEEEvT0_T1_jPSH_T2_SH_.kd
    .uniform_work_group_size: 1
    .uses_dynamic_stack: false
    .vgpr_count:     16
    .vgpr_spill_count: 0
    .wavefront_size: 64
  - .agpr_count:     0
    .args:
      - .address_space:  global
        .offset:         0
        .size:           8
        .value_kind:     global_buffer
      - .address_space:  global
        .offset:         8
        .size:           8
        .value_kind:     global_buffer
      - .address_space:  global
        .offset:         16
        .size:           8
        .value_kind:     global_buffer
      - .address_space:  global
        .offset:         24
        .size:           8
        .value_kind:     global_buffer
      - .offset:         32
        .size:           4
        .value_kind:     by_value
      - .offset:         36
        .size:           4
        .value_kind:     by_value
      - .offset:         40
        .size:           4
        .value_kind:     by_value
      - .offset:         48
        .size:           8
        .value_kind:     by_value
      - .address_space:  global
        .offset:         56
        .size:           8
        .value_kind:     global_buffer
      - .address_space:  global
        .offset:         64
        .size:           8
        .value_kind:     global_buffer
      - .offset:         72
        .size:           4
        .value_kind:     hidden_block_count_x
      - .offset:         76
        .size:           4
        .value_kind:     hidden_block_count_y
      - .offset:         80
        .size:           4
        .value_kind:     hidden_block_count_z
      - .offset:         84
        .size:           2
        .value_kind:     hidden_group_size_x
      - .offset:         86
        .size:           2
        .value_kind:     hidden_group_size_y
      - .offset:         88
        .size:           2
        .value_kind:     hidden_group_size_z
      - .offset:         90
        .size:           2
        .value_kind:     hidden_remainder_x
      - .offset:         92
        .size:           2
        .value_kind:     hidden_remainder_y
      - .offset:         94
        .size:           2
        .value_kind:     hidden_remainder_z
      - .offset:         112
        .size:           8
        .value_kind:     hidden_global_offset_x
      - .offset:         120
        .size:           8
        .value_kind:     hidden_global_offset_y
      - .offset:         128
        .size:           8
        .value_kind:     hidden_global_offset_z
      - .offset:         136
        .size:           2
        .value_kind:     hidden_grid_dims
    .group_segment_fixed_size: 8448
    .kernarg_segment_align: 8
    .kernarg_segment_size: 328
    .language:       OpenCL C
    .language_version:
      - 2
      - 0
    .max_flat_workgroup_size: 256
    .name:           _ZN7rocprim17ROCPRIM_304000_NS6detail35device_block_merge_mergepath_kernelINS1_37wrapped_merge_sort_block_merge_configINS0_14default_configElN2at4cuda3cub6detail10OpaqueTypeILi1EEEEEPlSC_PSA_SD_jNS1_19radix_merge_compareILb0ELb1ElNS0_19identity_decomposerEEEEEvT0_T1_T2_T3_T4_SL_jT5_PKSL_NS1_7vsmem_tE
    .private_segment_fixed_size: 0
    .sgpr_count:     40
    .sgpr_spill_count: 0
    .symbol:         _ZN7rocprim17ROCPRIM_304000_NS6detail35device_block_merge_mergepath_kernelINS1_37wrapped_merge_sort_block_merge_configINS0_14default_configElN2at4cuda3cub6detail10OpaqueTypeILi1EEEEEPlSC_PSA_SD_jNS1_19radix_merge_compareILb0ELb1ElNS0_19identity_decomposerEEEEEvT0_T1_T2_T3_T4_SL_jT5_PKSL_NS1_7vsmem_tE.kd
    .uniform_work_group_size: 1
    .uses_dynamic_stack: false
    .vgpr_count:     27
    .vgpr_spill_count: 0
    .wavefront_size: 64
  - .agpr_count:     0
    .args:
      - .address_space:  global
        .offset:         0
        .size:           8
        .value_kind:     global_buffer
      - .address_space:  global
        .offset:         8
        .size:           8
        .value_kind:     global_buffer
      - .address_space:  global
        .offset:         16
        .size:           8
        .value_kind:     global_buffer
      - .address_space:  global
        .offset:         24
        .size:           8
        .value_kind:     global_buffer
      - .offset:         32
        .size:           4
        .value_kind:     by_value
      - .offset:         36
        .size:           4
        .value_kind:     by_value
      - .offset:         40
        .size:           8
        .value_kind:     by_value
    .group_segment_fixed_size: 0
    .kernarg_segment_align: 8
    .kernarg_segment_size: 48
    .language:       OpenCL C
    .language_version:
      - 2
      - 0
    .max_flat_workgroup_size: 256
    .name:           _ZN7rocprim17ROCPRIM_304000_NS6detail33device_block_merge_oddeven_kernelINS1_37wrapped_merge_sort_block_merge_configINS0_14default_configElN2at4cuda3cub6detail10OpaqueTypeILi1EEEEEPlSC_PSA_SD_jNS1_19radix_merge_compareILb0ELb1ElNS0_19identity_decomposerEEEEEvT0_T1_T2_T3_T4_SL_T5_
    .private_segment_fixed_size: 0
    .sgpr_count:     30
    .sgpr_spill_count: 0
    .symbol:         _ZN7rocprim17ROCPRIM_304000_NS6detail33device_block_merge_oddeven_kernelINS1_37wrapped_merge_sort_block_merge_configINS0_14default_configElN2at4cuda3cub6detail10OpaqueTypeILi1EEEEEPlSC_PSA_SD_jNS1_19radix_merge_compareILb0ELb1ElNS0_19identity_decomposerEEEEEvT0_T1_T2_T3_T4_SL_T5_.kd
    .uniform_work_group_size: 1
    .uses_dynamic_stack: false
    .vgpr_count:     14
    .vgpr_spill_count: 0
    .wavefront_size: 64
  - .agpr_count:     0
    .args:
      - .address_space:  global
        .offset:         0
        .size:           8
        .value_kind:     global_buffer
      - .address_space:  global
        .offset:         8
        .size:           8
        .value_kind:     global_buffer
      - .offset:         16
        .size:           8
        .value_kind:     by_value
      - .offset:         24
        .size:           8
        .value_kind:     by_value
      - .offset:         32
        .size:           1
        .value_kind:     by_value
      - .offset:         36
        .size:           4
        .value_kind:     by_value
      - .offset:         40
        .size:           4
        .value_kind:     by_value
    .group_segment_fixed_size: 32768
    .kernarg_segment_align: 8
    .kernarg_segment_size: 44
    .language:       OpenCL C
    .language_version:
      - 2
      - 0
    .max_flat_workgroup_size: 1024
    .name:           _ZN7rocprim17ROCPRIM_304000_NS6detail26onesweep_histograms_kernelINS1_34wrapped_radix_sort_onesweep_configINS0_14default_configElN2at4cuda3cub6detail10OpaqueTypeILi1EEEEELb0EPKlmNS0_19identity_decomposerEEEvT1_PT2_SG_SG_T3_jj
    .private_segment_fixed_size: 0
    .sgpr_count:     85
    .sgpr_spill_count: 0
    .symbol:         _ZN7rocprim17ROCPRIM_304000_NS6detail26onesweep_histograms_kernelINS1_34wrapped_radix_sort_onesweep_configINS0_14default_configElN2at4cuda3cub6detail10OpaqueTypeILi1EEEEELb0EPKlmNS0_19identity_decomposerEEEvT1_PT2_SG_SG_T3_jj.kd
    .uniform_work_group_size: 1
    .uses_dynamic_stack: false
    .vgpr_count:     98
    .vgpr_spill_count: 0
    .wavefront_size: 64
  - .agpr_count:     0
    .args:
      - .address_space:  global
        .offset:         0
        .size:           8
        .value_kind:     global_buffer
      - .address_space:  global
        .offset:         8
        .size:           8
        .value_kind:     global_buffer
      - .address_space:  global
        .offset:         16
        .size:           8
        .value_kind:     global_buffer
      - .address_space:  global
        .offset:         24
        .size:           8
        .value_kind:     global_buffer
      - .offset:         32
        .size:           4
        .value_kind:     by_value
      - .address_space:  global
        .offset:         40
        .size:           8
        .value_kind:     global_buffer
      - .address_space:  global
        .offset:         48
        .size:           8
        .value_kind:     global_buffer
      - .address_space:  global
        .offset:         56
        .size:           8
        .value_kind:     global_buffer
      - .offset:         64
        .size:           1
        .value_kind:     by_value
      - .offset:         68
        .size:           4
        .value_kind:     by_value
      - .offset:         72
        .size:           4
        .value_kind:     by_value
      - .offset:         76
        .size:           4
        .value_kind:     by_value
      - .offset:         80
        .size:           4
        .value_kind:     hidden_block_count_x
      - .offset:         84
        .size:           4
        .value_kind:     hidden_block_count_y
      - .offset:         88
        .size:           4
        .value_kind:     hidden_block_count_z
      - .offset:         92
        .size:           2
        .value_kind:     hidden_group_size_x
      - .offset:         94
        .size:           2
        .value_kind:     hidden_group_size_y
      - .offset:         96
        .size:           2
        .value_kind:     hidden_group_size_z
      - .offset:         98
        .size:           2
        .value_kind:     hidden_remainder_x
      - .offset:         100
        .size:           2
        .value_kind:     hidden_remainder_y
      - .offset:         102
        .size:           2
        .value_kind:     hidden_remainder_z
      - .offset:         120
        .size:           8
        .value_kind:     hidden_global_offset_x
      - .offset:         128
        .size:           8
        .value_kind:     hidden_global_offset_y
      - .offset:         136
        .size:           8
        .value_kind:     hidden_global_offset_z
      - .offset:         144
        .size:           2
        .value_kind:     hidden_grid_dims
    .group_segment_fixed_size: 51200
    .kernarg_segment_align: 8
    .kernarg_segment_size: 336
    .language:       OpenCL C
    .language_version:
      - 2
      - 0
    .max_flat_workgroup_size: 1024
    .name:           _ZN7rocprim17ROCPRIM_304000_NS6detail25onesweep_iteration_kernelINS1_34wrapped_radix_sort_onesweep_configINS0_14default_configElN2at4cuda3cub6detail10OpaqueTypeILi1EEEEELb0EPKlPlPKSA_PSA_mNS0_19identity_decomposerEEEvT1_T2_T3_T4_jPT5_SO_PNS1_23onesweep_lookback_stateET6_jjj
    .private_segment_fixed_size: 0
    .sgpr_count:     56
    .sgpr_spill_count: 0
    .symbol:         _ZN7rocprim17ROCPRIM_304000_NS6detail25onesweep_iteration_kernelINS1_34wrapped_radix_sort_onesweep_configINS0_14default_configElN2at4cuda3cub6detail10OpaqueTypeILi1EEEEELb0EPKlPlPKSA_PSA_mNS0_19identity_decomposerEEEvT1_T2_T3_T4_jPT5_SO_PNS1_23onesweep_lookback_stateET6_jjj.kd
    .uniform_work_group_size: 1
    .uses_dynamic_stack: false
    .vgpr_count:     46
    .vgpr_spill_count: 0
    .wavefront_size: 64
  - .agpr_count:     0
    .args:
      - .address_space:  global
        .offset:         0
        .size:           8
        .value_kind:     global_buffer
      - .address_space:  global
        .offset:         8
        .size:           8
        .value_kind:     global_buffer
      - .address_space:  global
        .offset:         16
        .size:           8
        .value_kind:     global_buffer
      - .address_space:  global
        .offset:         24
        .size:           8
        .value_kind:     global_buffer
      - .offset:         32
        .size:           4
        .value_kind:     by_value
      - .address_space:  global
        .offset:         40
        .size:           8
        .value_kind:     global_buffer
      - .address_space:  global
        .offset:         48
        .size:           8
        .value_kind:     global_buffer
      - .address_space:  global
        .offset:         56
        .size:           8
        .value_kind:     global_buffer
      - .offset:         64
        .size:           1
        .value_kind:     by_value
      - .offset:         68
        .size:           4
        .value_kind:     by_value
      - .offset:         72
        .size:           4
        .value_kind:     by_value
      - .offset:         76
        .size:           4
        .value_kind:     by_value
      - .offset:         80
        .size:           4
        .value_kind:     hidden_block_count_x
      - .offset:         84
        .size:           4
        .value_kind:     hidden_block_count_y
      - .offset:         88
        .size:           4
        .value_kind:     hidden_block_count_z
      - .offset:         92
        .size:           2
        .value_kind:     hidden_group_size_x
      - .offset:         94
        .size:           2
        .value_kind:     hidden_group_size_y
      - .offset:         96
        .size:           2
        .value_kind:     hidden_group_size_z
      - .offset:         98
        .size:           2
        .value_kind:     hidden_remainder_x
      - .offset:         100
        .size:           2
        .value_kind:     hidden_remainder_y
      - .offset:         102
        .size:           2
        .value_kind:     hidden_remainder_z
      - .offset:         120
        .size:           8
        .value_kind:     hidden_global_offset_x
      - .offset:         128
        .size:           8
        .value_kind:     hidden_global_offset_y
      - .offset:         136
        .size:           8
        .value_kind:     hidden_global_offset_z
      - .offset:         144
        .size:           2
        .value_kind:     hidden_grid_dims
    .group_segment_fixed_size: 51200
    .kernarg_segment_align: 8
    .kernarg_segment_size: 336
    .language:       OpenCL C
    .language_version:
      - 2
      - 0
    .max_flat_workgroup_size: 1024
    .name:           _ZN7rocprim17ROCPRIM_304000_NS6detail25onesweep_iteration_kernelINS1_34wrapped_radix_sort_onesweep_configINS0_14default_configElN2at4cuda3cub6detail10OpaqueTypeILi1EEEEELb0EPlSC_PSA_SD_mNS0_19identity_decomposerEEEvT1_T2_T3_T4_jPT5_SK_PNS1_23onesweep_lookback_stateET6_jjj
    .private_segment_fixed_size: 0
    .sgpr_count:     56
    .sgpr_spill_count: 0
    .symbol:         _ZN7rocprim17ROCPRIM_304000_NS6detail25onesweep_iteration_kernelINS1_34wrapped_radix_sort_onesweep_configINS0_14default_configElN2at4cuda3cub6detail10OpaqueTypeILi1EEEEELb0EPlSC_PSA_SD_mNS0_19identity_decomposerEEEvT1_T2_T3_T4_jPT5_SK_PNS1_23onesweep_lookback_stateET6_jjj.kd
    .uniform_work_group_size: 1
    .uses_dynamic_stack: false
    .vgpr_count:     46
    .vgpr_spill_count: 0
    .wavefront_size: 64
amdhsa.target:   amdgcn-amd-amdhsa--gfx942
amdhsa.version:
  - 1
  - 2
...

	.end_amdgpu_metadata
